;; amdgpu-corpus repo=zjin-lcf/HeCBench kind=compiled arch=gfx906 opt=O3
	.amdgcn_target "amdgcn-amd-amdhsa--gfx906"
	.amdhsa_code_object_version 6
	.text
	.p2align	2                               ; -- Begin function __ockl_fprintf_append_string_n
	.type	__ockl_fprintf_append_string_n,@function
__ockl_fprintf_append_string_n:         ; @__ockl_fprintf_append_string_n
; %bb.0:
	s_waitcnt vmcnt(0) expcnt(0) lgkmcnt(0)
	v_mov_b32_e32 v8, v3
	v_mov_b32_e32 v7, v2
	v_or_b32_e32 v2, 2, v0
	v_cmp_eq_u32_e32 vcc, 0, v6
	v_cndmask_b32_e32 v0, v2, v0, vcc
	v_cmp_ne_u64_e32 vcc, 0, v[7:8]
	s_mov_b32 s22, 0
	s_mov_b64 s[6:7], 0
	v_mbcnt_lo_u32_b32 v2, -1, 0
	s_and_saveexec_b64 s[4:5], vcc
	s_xor_b64 s[10:11], exec, s[4:5]
	s_cbranch_execz .LBB0_86
; %bb.1:
	s_load_dwordx2 s[12:13], s[8:9], 0x50
	v_and_b32_e32 v6, 2, v0
	v_mov_b32_e32 v29, 0
	v_and_b32_e32 v0, -3, v0
	v_mbcnt_hi_u32_b32 v34, -1, v2
	s_movk_i32 s23, 0x1e0
	v_mov_b32_e32 v11, 2
	v_mov_b32_e32 v12, 1
	s_branch .LBB0_3
.LBB0_2:                                ;   in Loop: Header=BB0_3 Depth=1
	s_or_b64 exec, exec, s[16:17]
	v_sub_co_u32_e32 v4, vcc, v4, v30
	v_subb_co_u32_e32 v5, vcc, v5, v31, vcc
	v_cmp_eq_u64_e32 vcc, 0, v[4:5]
	s_or_b64 s[6:7], vcc, s[6:7]
	v_add_co_u32_e32 v7, vcc, v7, v30
	v_addc_co_u32_e32 v8, vcc, v8, v31, vcc
	s_andn2_b64 exec, exec, s[6:7]
	s_cbranch_execz .LBB0_85
.LBB0_3:                                ; =>This Loop Header: Depth=1
                                        ;     Child Loop BB0_6 Depth 2
                                        ;     Child Loop BB0_14 Depth 2
	;; [unrolled: 1-line block ×11, first 2 shown]
	v_cmp_gt_u64_e32 vcc, 56, v[4:5]
	v_add_co_u32_e64 v15, s[4:5], 8, v7
	v_cndmask_b32_e32 v31, 0, v5, vcc
	v_cndmask_b32_e32 v30, 56, v4, vcc
	v_cmp_gt_u64_e32 vcc, 8, v[4:5]
	v_addc_co_u32_e64 v16, s[4:5], 0, v8, s[4:5]
	s_and_saveexec_b64 s[4:5], vcc
	s_xor_b64 s[4:5], exec, s[4:5]
	s_cbranch_execz .LBB0_9
; %bb.4:                                ;   in Loop: Header=BB0_3 Depth=1
	s_waitcnt vmcnt(0)
	v_mov_b32_e32 v2, 0
	v_cmp_ne_u64_e32 vcc, 0, v[4:5]
	v_mov_b32_e32 v3, 0
	s_and_saveexec_b64 s[14:15], vcc
	s_cbranch_execz .LBB0_8
; %bb.5:                                ;   in Loop: Header=BB0_3 Depth=1
	v_lshlrev_b64 v[9:10], 3, v[30:31]
	v_mov_b32_e32 v2, 0
	v_mov_b32_e32 v14, v8
	s_mov_b64 s[16:17], 0
	v_mov_b32_e32 v3, 0
	v_mov_b32_e32 v13, v7
	s_mov_b64 s[18:19], 0
.LBB0_6:                                ;   Parent Loop BB0_3 Depth=1
                                        ; =>  This Inner Loop Header: Depth=2
	global_load_ubyte v10, v[13:14], off
	v_mov_b32_e32 v16, s22
	v_add_co_u32_e32 v13, vcc, 1, v13
	v_addc_co_u32_e32 v14, vcc, 0, v14, vcc
	s_waitcnt vmcnt(0)
	v_and_b32_e32 v15, 0xffff, v10
	v_lshlrev_b64 v[15:16], s18, v[15:16]
	s_add_u32 s18, s18, 8
	s_addc_u32 s19, s19, 0
	v_cmp_eq_u32_e32 vcc, s18, v9
	v_or_b32_e32 v3, v16, v3
	s_or_b64 s[16:17], vcc, s[16:17]
	v_or_b32_e32 v2, v15, v2
	s_andn2_b64 exec, exec, s[16:17]
	s_cbranch_execnz .LBB0_6
; %bb.7:                                ;   in Loop: Header=BB0_3 Depth=1
	s_or_b64 exec, exec, s[16:17]
.LBB0_8:                                ;   in Loop: Header=BB0_3 Depth=1
	s_or_b64 exec, exec, s[14:15]
	v_mov_b32_e32 v16, v8
	v_mov_b32_e32 v15, v7
.LBB0_9:                                ;   in Loop: Header=BB0_3 Depth=1
	s_or_saveexec_b64 s[4:5], s[4:5]
	v_mov_b32_e32 v17, 0
	s_xor_b64 exec, exec, s[4:5]
	s_cbranch_execz .LBB0_11
; %bb.10:                               ;   in Loop: Header=BB0_3 Depth=1
	global_load_dwordx2 v[2:3], v[7:8], off
	v_add_u32_e32 v17, -8, v30
.LBB0_11:                               ;   in Loop: Header=BB0_3 Depth=1
	s_or_b64 exec, exec, s[4:5]
	v_add_co_u32_e64 v9, s[4:5], 8, v15
	v_cmp_gt_u32_e32 vcc, 8, v17
	v_addc_co_u32_e64 v10, s[4:5], 0, v16, s[4:5]
                                        ; implicit-def: $vgpr13_vgpr14
	s_and_saveexec_b64 s[4:5], vcc
	s_xor_b64 s[4:5], exec, s[4:5]
	s_cbranch_execz .LBB0_17
; %bb.12:                               ;   in Loop: Header=BB0_3 Depth=1
	v_mov_b32_e32 v13, 0
	v_mov_b32_e32 v14, 0
	v_cmp_ne_u32_e32 vcc, 0, v17
	s_and_saveexec_b64 s[14:15], vcc
	s_cbranch_execz .LBB0_16
; %bb.13:                               ;   in Loop: Header=BB0_3 Depth=1
	v_mov_b32_e32 v13, 0
	s_mov_b64 s[16:17], 0
	v_mov_b32_e32 v14, 0
	s_mov_b64 s[18:19], 0
	s_mov_b64 s[20:21], 0
.LBB0_14:                               ;   Parent Loop BB0_3 Depth=1
                                        ; =>  This Inner Loop Header: Depth=2
	v_mov_b32_e32 v10, s21
	v_add_co_u32_e32 v9, vcc, s20, v15
	v_addc_co_u32_e32 v10, vcc, v16, v10, vcc
	global_load_ubyte v9, v[9:10], off
	s_add_u32 s20, s20, 1
	v_mov_b32_e32 v10, s22
	s_addc_u32 s21, s21, 0
	v_cmp_eq_u32_e32 vcc, s20, v17
	s_waitcnt vmcnt(0)
	v_and_b32_e32 v9, 0xffff, v9
	v_lshlrev_b64 v[9:10], s18, v[9:10]
	s_add_u32 s18, s18, 8
	s_addc_u32 s19, s19, 0
	v_or_b32_e32 v14, v10, v14
	s_or_b64 s[16:17], vcc, s[16:17]
	v_or_b32_e32 v13, v9, v13
	s_andn2_b64 exec, exec, s[16:17]
	s_cbranch_execnz .LBB0_14
; %bb.15:                               ;   in Loop: Header=BB0_3 Depth=1
	s_or_b64 exec, exec, s[16:17]
.LBB0_16:                               ;   in Loop: Header=BB0_3 Depth=1
	s_or_b64 exec, exec, s[14:15]
	v_mov_b32_e32 v9, v15
	v_mov_b32_e32 v10, v16
                                        ; implicit-def: $vgpr17
.LBB0_17:                               ;   in Loop: Header=BB0_3 Depth=1
	s_or_saveexec_b64 s[4:5], s[4:5]
	v_mov_b32_e32 v18, 0
	s_xor_b64 exec, exec, s[4:5]
	s_cbranch_execz .LBB0_19
; %bb.18:                               ;   in Loop: Header=BB0_3 Depth=1
	global_load_dwordx2 v[13:14], v[15:16], off
	v_add_u32_e32 v18, -8, v17
.LBB0_19:                               ;   in Loop: Header=BB0_3 Depth=1
	s_or_b64 exec, exec, s[4:5]
	v_add_co_u32_e64 v19, s[4:5], 8, v9
	v_cmp_gt_u32_e32 vcc, 8, v18
	v_addc_co_u32_e64 v20, s[4:5], 0, v10, s[4:5]
	s_and_saveexec_b64 s[4:5], vcc
	s_xor_b64 s[4:5], exec, s[4:5]
	s_cbranch_execz .LBB0_25
; %bb.20:                               ;   in Loop: Header=BB0_3 Depth=1
	v_mov_b32_e32 v15, 0
	v_mov_b32_e32 v16, 0
	v_cmp_ne_u32_e32 vcc, 0, v18
	s_and_saveexec_b64 s[14:15], vcc
	s_cbranch_execz .LBB0_24
; %bb.21:                               ;   in Loop: Header=BB0_3 Depth=1
	v_mov_b32_e32 v15, 0
	s_mov_b64 s[16:17], 0
	v_mov_b32_e32 v16, 0
	s_mov_b64 s[18:19], 0
	s_mov_b64 s[20:21], 0
.LBB0_22:                               ;   Parent Loop BB0_3 Depth=1
                                        ; =>  This Inner Loop Header: Depth=2
	v_mov_b32_e32 v17, s21
	v_add_co_u32_e32 v19, vcc, s20, v9
	v_addc_co_u32_e32 v20, vcc, v10, v17, vcc
	global_load_ubyte v17, v[19:20], off
	s_add_u32 s20, s20, 1
	v_mov_b32_e32 v20, s22
	s_addc_u32 s21, s21, 0
	v_cmp_eq_u32_e32 vcc, s20, v18
	s_waitcnt vmcnt(0)
	v_and_b32_e32 v19, 0xffff, v17
	v_lshlrev_b64 v[19:20], s18, v[19:20]
	s_add_u32 s18, s18, 8
	s_addc_u32 s19, s19, 0
	v_or_b32_e32 v16, v20, v16
	s_or_b64 s[16:17], vcc, s[16:17]
	v_or_b32_e32 v15, v19, v15
	s_andn2_b64 exec, exec, s[16:17]
	s_cbranch_execnz .LBB0_22
; %bb.23:                               ;   in Loop: Header=BB0_3 Depth=1
	s_or_b64 exec, exec, s[16:17]
.LBB0_24:                               ;   in Loop: Header=BB0_3 Depth=1
	s_or_b64 exec, exec, s[14:15]
	v_mov_b32_e32 v20, v10
	v_mov_b32_e32 v19, v9
                                        ; implicit-def: $vgpr18
.LBB0_25:                               ;   in Loop: Header=BB0_3 Depth=1
	s_or_saveexec_b64 s[4:5], s[4:5]
	v_mov_b32_e32 v21, 0
	s_xor_b64 exec, exec, s[4:5]
	s_cbranch_execz .LBB0_27
; %bb.26:                               ;   in Loop: Header=BB0_3 Depth=1
	global_load_dwordx2 v[15:16], v[9:10], off
	v_add_u32_e32 v21, -8, v18
.LBB0_27:                               ;   in Loop: Header=BB0_3 Depth=1
	s_or_b64 exec, exec, s[4:5]
	v_add_co_u32_e64 v9, s[4:5], 8, v19
	v_cmp_gt_u32_e32 vcc, 8, v21
	v_addc_co_u32_e64 v10, s[4:5], 0, v20, s[4:5]
                                        ; implicit-def: $vgpr17_vgpr18
	s_and_saveexec_b64 s[4:5], vcc
	s_xor_b64 s[4:5], exec, s[4:5]
	s_cbranch_execz .LBB0_33
; %bb.28:                               ;   in Loop: Header=BB0_3 Depth=1
	v_mov_b32_e32 v17, 0
	v_mov_b32_e32 v18, 0
	v_cmp_ne_u32_e32 vcc, 0, v21
	s_and_saveexec_b64 s[14:15], vcc
	s_cbranch_execz .LBB0_32
; %bb.29:                               ;   in Loop: Header=BB0_3 Depth=1
	v_mov_b32_e32 v17, 0
	s_mov_b64 s[16:17], 0
	v_mov_b32_e32 v18, 0
	s_mov_b64 s[18:19], 0
	s_mov_b64 s[20:21], 0
.LBB0_30:                               ;   Parent Loop BB0_3 Depth=1
                                        ; =>  This Inner Loop Header: Depth=2
	v_mov_b32_e32 v10, s21
	v_add_co_u32_e32 v9, vcc, s20, v19
	v_addc_co_u32_e32 v10, vcc, v20, v10, vcc
	global_load_ubyte v9, v[9:10], off
	s_add_u32 s20, s20, 1
	v_mov_b32_e32 v10, s22
	s_addc_u32 s21, s21, 0
	v_cmp_eq_u32_e32 vcc, s20, v21
	s_waitcnt vmcnt(0)
	v_and_b32_e32 v9, 0xffff, v9
	v_lshlrev_b64 v[9:10], s18, v[9:10]
	s_add_u32 s18, s18, 8
	s_addc_u32 s19, s19, 0
	v_or_b32_e32 v18, v10, v18
	s_or_b64 s[16:17], vcc, s[16:17]
	v_or_b32_e32 v17, v9, v17
	s_andn2_b64 exec, exec, s[16:17]
	s_cbranch_execnz .LBB0_30
; %bb.31:                               ;   in Loop: Header=BB0_3 Depth=1
	s_or_b64 exec, exec, s[16:17]
.LBB0_32:                               ;   in Loop: Header=BB0_3 Depth=1
	s_or_b64 exec, exec, s[14:15]
	v_mov_b32_e32 v9, v19
	v_mov_b32_e32 v10, v20
                                        ; implicit-def: $vgpr21
.LBB0_33:                               ;   in Loop: Header=BB0_3 Depth=1
	s_or_saveexec_b64 s[4:5], s[4:5]
	v_mov_b32_e32 v22, 0
	s_xor_b64 exec, exec, s[4:5]
	s_cbranch_execz .LBB0_35
; %bb.34:                               ;   in Loop: Header=BB0_3 Depth=1
	global_load_dwordx2 v[17:18], v[19:20], off
	v_add_u32_e32 v22, -8, v21
.LBB0_35:                               ;   in Loop: Header=BB0_3 Depth=1
	s_or_b64 exec, exec, s[4:5]
	v_add_co_u32_e64 v23, s[4:5], 8, v9
	v_cmp_gt_u32_e32 vcc, 8, v22
	v_addc_co_u32_e64 v24, s[4:5], 0, v10, s[4:5]
	s_and_saveexec_b64 s[4:5], vcc
	s_xor_b64 s[4:5], exec, s[4:5]
	s_cbranch_execz .LBB0_41
; %bb.36:                               ;   in Loop: Header=BB0_3 Depth=1
	v_mov_b32_e32 v19, 0
	v_mov_b32_e32 v20, 0
	v_cmp_ne_u32_e32 vcc, 0, v22
	s_and_saveexec_b64 s[14:15], vcc
	s_cbranch_execz .LBB0_40
; %bb.37:                               ;   in Loop: Header=BB0_3 Depth=1
	v_mov_b32_e32 v19, 0
	s_mov_b64 s[16:17], 0
	v_mov_b32_e32 v20, 0
	s_mov_b64 s[18:19], 0
	s_mov_b64 s[20:21], 0
.LBB0_38:                               ;   Parent Loop BB0_3 Depth=1
                                        ; =>  This Inner Loop Header: Depth=2
	v_mov_b32_e32 v21, s21
	v_add_co_u32_e32 v23, vcc, s20, v9
	v_addc_co_u32_e32 v24, vcc, v10, v21, vcc
	global_load_ubyte v21, v[23:24], off
	s_add_u32 s20, s20, 1
	v_mov_b32_e32 v24, s22
	s_addc_u32 s21, s21, 0
	v_cmp_eq_u32_e32 vcc, s20, v22
	s_waitcnt vmcnt(0)
	v_and_b32_e32 v23, 0xffff, v21
	v_lshlrev_b64 v[23:24], s18, v[23:24]
	s_add_u32 s18, s18, 8
	s_addc_u32 s19, s19, 0
	v_or_b32_e32 v20, v24, v20
	s_or_b64 s[16:17], vcc, s[16:17]
	v_or_b32_e32 v19, v23, v19
	s_andn2_b64 exec, exec, s[16:17]
	s_cbranch_execnz .LBB0_38
; %bb.39:                               ;   in Loop: Header=BB0_3 Depth=1
	s_or_b64 exec, exec, s[16:17]
.LBB0_40:                               ;   in Loop: Header=BB0_3 Depth=1
	s_or_b64 exec, exec, s[14:15]
	v_mov_b32_e32 v24, v10
	v_mov_b32_e32 v23, v9
                                        ; implicit-def: $vgpr22
.LBB0_41:                               ;   in Loop: Header=BB0_3 Depth=1
	s_or_saveexec_b64 s[4:5], s[4:5]
	v_mov_b32_e32 v25, 0
	s_xor_b64 exec, exec, s[4:5]
	s_cbranch_execz .LBB0_43
; %bb.42:                               ;   in Loop: Header=BB0_3 Depth=1
	global_load_dwordx2 v[19:20], v[9:10], off
	v_add_u32_e32 v25, -8, v22
.LBB0_43:                               ;   in Loop: Header=BB0_3 Depth=1
	s_or_b64 exec, exec, s[4:5]
	v_add_co_u32_e64 v9, s[4:5], 8, v23
	v_cmp_gt_u32_e32 vcc, 8, v25
	v_addc_co_u32_e64 v10, s[4:5], 0, v24, s[4:5]
                                        ; implicit-def: $vgpr21_vgpr22
	s_and_saveexec_b64 s[4:5], vcc
	s_xor_b64 s[4:5], exec, s[4:5]
	s_cbranch_execz .LBB0_49
; %bb.44:                               ;   in Loop: Header=BB0_3 Depth=1
	v_mov_b32_e32 v21, 0
	v_mov_b32_e32 v22, 0
	v_cmp_ne_u32_e32 vcc, 0, v25
	s_and_saveexec_b64 s[14:15], vcc
	s_cbranch_execz .LBB0_48
; %bb.45:                               ;   in Loop: Header=BB0_3 Depth=1
	v_mov_b32_e32 v21, 0
	s_mov_b64 s[16:17], 0
	v_mov_b32_e32 v22, 0
	s_mov_b64 s[18:19], 0
	s_mov_b64 s[20:21], 0
.LBB0_46:                               ;   Parent Loop BB0_3 Depth=1
                                        ; =>  This Inner Loop Header: Depth=2
	v_mov_b32_e32 v10, s21
	v_add_co_u32_e32 v9, vcc, s20, v23
	v_addc_co_u32_e32 v10, vcc, v24, v10, vcc
	global_load_ubyte v9, v[9:10], off
	s_add_u32 s20, s20, 1
	v_mov_b32_e32 v10, s22
	s_addc_u32 s21, s21, 0
	v_cmp_eq_u32_e32 vcc, s20, v25
	s_waitcnt vmcnt(0)
	v_and_b32_e32 v9, 0xffff, v9
	v_lshlrev_b64 v[9:10], s18, v[9:10]
	s_add_u32 s18, s18, 8
	s_addc_u32 s19, s19, 0
	v_or_b32_e32 v22, v10, v22
	s_or_b64 s[16:17], vcc, s[16:17]
	v_or_b32_e32 v21, v9, v21
	s_andn2_b64 exec, exec, s[16:17]
	s_cbranch_execnz .LBB0_46
; %bb.47:                               ;   in Loop: Header=BB0_3 Depth=1
	s_or_b64 exec, exec, s[16:17]
.LBB0_48:                               ;   in Loop: Header=BB0_3 Depth=1
	s_or_b64 exec, exec, s[14:15]
	v_mov_b32_e32 v9, v23
	v_mov_b32_e32 v10, v24
                                        ; implicit-def: $vgpr25
.LBB0_49:                               ;   in Loop: Header=BB0_3 Depth=1
	s_or_saveexec_b64 s[4:5], s[4:5]
	v_mov_b32_e32 v26, 0
	s_xor_b64 exec, exec, s[4:5]
	s_cbranch_execz .LBB0_51
; %bb.50:                               ;   in Loop: Header=BB0_3 Depth=1
	global_load_dwordx2 v[21:22], v[23:24], off
	v_add_u32_e32 v26, -8, v25
.LBB0_51:                               ;   in Loop: Header=BB0_3 Depth=1
	s_or_b64 exec, exec, s[4:5]
	v_cmp_gt_u32_e32 vcc, 8, v26
	s_and_saveexec_b64 s[4:5], vcc
	s_xor_b64 s[4:5], exec, s[4:5]
	s_cbranch_execz .LBB0_57
; %bb.52:                               ;   in Loop: Header=BB0_3 Depth=1
	v_mov_b32_e32 v23, 0
	v_mov_b32_e32 v24, 0
	v_cmp_ne_u32_e32 vcc, 0, v26
	s_and_saveexec_b64 s[14:15], vcc
	s_cbranch_execz .LBB0_56
; %bb.53:                               ;   in Loop: Header=BB0_3 Depth=1
	v_mov_b32_e32 v23, 0
	s_mov_b64 s[16:17], 0
	v_mov_b32_e32 v24, 0
	s_mov_b64 s[18:19], 0
.LBB0_54:                               ;   Parent Loop BB0_3 Depth=1
                                        ; =>  This Inner Loop Header: Depth=2
	global_load_ubyte v25, v[9:10], off
	v_mov_b32_e32 v28, s22
	v_add_co_u32_e32 v9, vcc, 1, v9
	v_add_u32_e32 v26, -1, v26
	v_addc_co_u32_e32 v10, vcc, 0, v10, vcc
	v_cmp_eq_u32_e32 vcc, 0, v26
	s_waitcnt vmcnt(0)
	v_and_b32_e32 v27, 0xffff, v25
	v_lshlrev_b64 v[27:28], s18, v[27:28]
	s_add_u32 s18, s18, 8
	s_addc_u32 s19, s19, 0
	v_or_b32_e32 v24, v28, v24
	s_or_b64 s[16:17], vcc, s[16:17]
	v_or_b32_e32 v23, v27, v23
	s_andn2_b64 exec, exec, s[16:17]
	s_cbranch_execnz .LBB0_54
; %bb.55:                               ;   in Loop: Header=BB0_3 Depth=1
	s_or_b64 exec, exec, s[16:17]
.LBB0_56:                               ;   in Loop: Header=BB0_3 Depth=1
	s_or_b64 exec, exec, s[14:15]
                                        ; implicit-def: $vgpr9_vgpr10
.LBB0_57:                               ;   in Loop: Header=BB0_3 Depth=1
	s_andn2_saveexec_b64 s[4:5], s[4:5]
	s_cbranch_execz .LBB0_59
; %bb.58:                               ;   in Loop: Header=BB0_3 Depth=1
	global_load_dwordx2 v[23:24], v[9:10], off
.LBB0_59:                               ;   in Loop: Header=BB0_3 Depth=1
	s_or_b64 exec, exec, s[4:5]
	v_readfirstlane_b32 s4, v34
	v_mov_b32_e32 v9, 0
	v_mov_b32_e32 v10, 0
	v_cmp_eq_u32_e64 s[4:5], s4, v34
	s_and_saveexec_b64 s[14:15], s[4:5]
	s_cbranch_execz .LBB0_65
; %bb.60:                               ;   in Loop: Header=BB0_3 Depth=1
	s_waitcnt lgkmcnt(0)
	global_load_dwordx2 v[27:28], v29, s[12:13] offset:24 glc
	s_waitcnt vmcnt(0)
	buffer_wbinvl1_vol
	global_load_dwordx2 v[9:10], v29, s[12:13] offset:40
	global_load_dwordx2 v[25:26], v29, s[12:13]
	s_waitcnt vmcnt(1)
	v_and_b32_e32 v9, v9, v27
	v_and_b32_e32 v10, v10, v28
	v_mul_lo_u32 v10, v10, 24
	v_mul_hi_u32 v32, v9, 24
	v_mul_lo_u32 v9, v9, 24
	v_add_u32_e32 v10, v32, v10
	s_waitcnt vmcnt(0)
	v_add_co_u32_e32 v9, vcc, v25, v9
	v_addc_co_u32_e32 v10, vcc, v26, v10, vcc
	global_load_dwordx2 v[25:26], v[9:10], off glc
	s_waitcnt vmcnt(0)
	global_atomic_cmpswap_x2 v[9:10], v29, v[25:28], s[12:13] offset:24 glc
	s_waitcnt vmcnt(0)
	buffer_wbinvl1_vol
	v_cmp_ne_u64_e32 vcc, v[9:10], v[27:28]
	s_and_saveexec_b64 s[16:17], vcc
	s_cbranch_execz .LBB0_64
; %bb.61:                               ;   in Loop: Header=BB0_3 Depth=1
	s_mov_b64 s[18:19], 0
.LBB0_62:                               ;   Parent Loop BB0_3 Depth=1
                                        ; =>  This Inner Loop Header: Depth=2
	s_sleep 1
	global_load_dwordx2 v[25:26], v29, s[12:13] offset:40
	global_load_dwordx2 v[32:33], v29, s[12:13]
	v_mov_b32_e32 v28, v10
	v_mov_b32_e32 v27, v9
	s_waitcnt vmcnt(1)
	v_and_b32_e32 v9, v25, v27
	s_waitcnt vmcnt(0)
	v_mad_u64_u32 v[9:10], s[20:21], v9, 24, v[32:33]
	v_and_b32_e32 v25, v26, v28
	v_mad_u64_u32 v[25:26], s[20:21], v25, 24, v[10:11]
	v_mov_b32_e32 v10, v25
	global_load_dwordx2 v[25:26], v[9:10], off glc
	s_waitcnt vmcnt(0)
	global_atomic_cmpswap_x2 v[9:10], v29, v[25:28], s[12:13] offset:24 glc
	s_waitcnt vmcnt(0)
	buffer_wbinvl1_vol
	v_cmp_eq_u64_e32 vcc, v[9:10], v[27:28]
	s_or_b64 s[18:19], vcc, s[18:19]
	s_andn2_b64 exec, exec, s[18:19]
	s_cbranch_execnz .LBB0_62
; %bb.63:                               ;   in Loop: Header=BB0_3 Depth=1
	s_or_b64 exec, exec, s[18:19]
.LBB0_64:                               ;   in Loop: Header=BB0_3 Depth=1
	s_or_b64 exec, exec, s[16:17]
.LBB0_65:                               ;   in Loop: Header=BB0_3 Depth=1
	s_or_b64 exec, exec, s[14:15]
	s_waitcnt lgkmcnt(0)
	global_load_dwordx2 v[32:33], v29, s[12:13] offset:40
	global_load_dwordx4 v[25:28], v29, s[12:13]
	v_readfirstlane_b32 s15, v10
	v_readfirstlane_b32 s14, v9
	s_mov_b64 s[16:17], exec
	s_waitcnt vmcnt(1)
	v_readfirstlane_b32 s18, v32
	v_readfirstlane_b32 s19, v33
	s_and_b64 s[18:19], s[18:19], s[14:15]
	s_mul_i32 s20, s19, 24
	s_mul_hi_u32 s21, s18, 24
	s_mul_i32 s24, s18, 24
	s_add_i32 s20, s21, s20
	v_mov_b32_e32 v9, s20
	s_waitcnt vmcnt(0)
	v_add_co_u32_e32 v32, vcc, s24, v25
	v_addc_co_u32_e32 v33, vcc, v26, v9, vcc
	s_and_saveexec_b64 s[20:21], s[4:5]
	s_cbranch_execz .LBB0_67
; %bb.66:                               ;   in Loop: Header=BB0_3 Depth=1
	v_mov_b32_e32 v9, s16
	v_mov_b32_e32 v10, s17
	global_store_dwordx4 v[32:33], v[9:12], off offset:8
.LBB0_67:                               ;   in Loop: Header=BB0_3 Depth=1
	s_or_b64 exec, exec, s[20:21]
	s_lshl_b64 s[16:17], s[18:19], 12
	v_mov_b32_e32 v9, s17
	v_add_co_u32_e32 v27, vcc, s16, v27
	v_addc_co_u32_e32 v35, vcc, v28, v9, vcc
	v_cmp_gt_u64_e32 vcc, 57, v[4:5]
	v_and_b32_e32 v0, 0xffffff1f, v0
	v_cndmask_b32_e32 v9, 0, v6, vcc
	v_lshl_add_u32 v10, v30, 2, 28
	v_or_b32_e32 v0, v0, v9
	v_and_or_b32 v0, v10, s23, v0
	v_lshlrev_b32_e32 v36, 6, v34
	v_readfirstlane_b32 s16, v27
	v_readfirstlane_b32 s17, v35
	s_nop 4
	global_store_dwordx4 v36, v[0:3], s[16:17]
	global_store_dwordx4 v36, v[13:16], s[16:17] offset:16
	global_store_dwordx4 v36, v[17:20], s[16:17] offset:32
	;; [unrolled: 1-line block ×3, first 2 shown]
	s_and_saveexec_b64 s[16:17], s[4:5]
	s_cbranch_execz .LBB0_75
; %bb.68:                               ;   in Loop: Header=BB0_3 Depth=1
	global_load_dwordx2 v[15:16], v29, s[12:13] offset:32 glc
	global_load_dwordx2 v[0:1], v29, s[12:13] offset:40
	v_mov_b32_e32 v13, s14
	v_mov_b32_e32 v14, s15
	s_waitcnt vmcnt(0)
	v_readfirstlane_b32 s18, v0
	v_readfirstlane_b32 s19, v1
	s_and_b64 s[18:19], s[18:19], s[14:15]
	s_mul_i32 s19, s19, 24
	s_mul_hi_u32 s20, s18, 24
	s_mul_i32 s18, s18, 24
	s_add_i32 s19, s20, s19
	v_mov_b32_e32 v0, s19
	v_add_co_u32_e32 v9, vcc, s18, v25
	v_addc_co_u32_e32 v10, vcc, v26, v0, vcc
	global_store_dwordx2 v[9:10], v[15:16], off
	s_waitcnt vmcnt(0)
	global_atomic_cmpswap_x2 v[2:3], v29, v[13:16], s[12:13] offset:32 glc
	s_waitcnt vmcnt(0)
	v_cmp_ne_u64_e32 vcc, v[2:3], v[15:16]
	s_and_saveexec_b64 s[18:19], vcc
	s_cbranch_execz .LBB0_71
; %bb.69:                               ;   in Loop: Header=BB0_3 Depth=1
	s_mov_b64 s[20:21], 0
.LBB0_70:                               ;   Parent Loop BB0_3 Depth=1
                                        ; =>  This Inner Loop Header: Depth=2
	s_sleep 1
	global_store_dwordx2 v[9:10], v[2:3], off
	v_mov_b32_e32 v0, s14
	v_mov_b32_e32 v1, s15
	s_waitcnt vmcnt(0)
	global_atomic_cmpswap_x2 v[0:1], v29, v[0:3], s[12:13] offset:32 glc
	s_waitcnt vmcnt(0)
	v_cmp_eq_u64_e32 vcc, v[0:1], v[2:3]
	v_mov_b32_e32 v3, v1
	s_or_b64 s[20:21], vcc, s[20:21]
	v_mov_b32_e32 v2, v0
	s_andn2_b64 exec, exec, s[20:21]
	s_cbranch_execnz .LBB0_70
.LBB0_71:                               ;   in Loop: Header=BB0_3 Depth=1
	s_or_b64 exec, exec, s[18:19]
	global_load_dwordx2 v[0:1], v29, s[12:13] offset:16
	s_mov_b64 s[20:21], exec
	v_mbcnt_lo_u32_b32 v2, s20, 0
	v_mbcnt_hi_u32_b32 v2, s21, v2
	v_cmp_eq_u32_e32 vcc, 0, v2
	s_and_saveexec_b64 s[18:19], vcc
	s_cbranch_execz .LBB0_73
; %bb.72:                               ;   in Loop: Header=BB0_3 Depth=1
	s_bcnt1_i32_b64 s20, s[20:21]
	v_mov_b32_e32 v28, s20
	s_waitcnt vmcnt(0)
	global_atomic_add_x2 v[0:1], v[28:29], off offset:8
.LBB0_73:                               ;   in Loop: Header=BB0_3 Depth=1
	s_or_b64 exec, exec, s[18:19]
	s_waitcnt vmcnt(0)
	global_load_dwordx2 v[2:3], v[0:1], off offset:16
	s_waitcnt vmcnt(0)
	v_cmp_eq_u64_e32 vcc, 0, v[2:3]
	s_cbranch_vccnz .LBB0_75
; %bb.74:                               ;   in Loop: Header=BB0_3 Depth=1
	global_load_dword v28, v[0:1], off offset:24
	s_waitcnt vmcnt(0)
	v_readfirstlane_b32 s18, v28
	s_and_b32 m0, s18, 0xffffff
	global_store_dwordx2 v[2:3], v[28:29], off
	s_sendmsg sendmsg(MSG_INTERRUPT)
.LBB0_75:                               ;   in Loop: Header=BB0_3 Depth=1
	s_or_b64 exec, exec, s[16:17]
	v_add_co_u32_e32 v0, vcc, v27, v36
	v_addc_co_u32_e32 v1, vcc, 0, v35, vcc
	s_branch .LBB0_79
.LBB0_76:                               ;   in Loop: Header=BB0_79 Depth=2
	s_or_b64 exec, exec, s[16:17]
	v_readfirstlane_b32 s16, v2
	s_cmp_eq_u32 s16, 0
	s_cbranch_scc1 .LBB0_78
; %bb.77:                               ;   in Loop: Header=BB0_79 Depth=2
	s_sleep 1
	s_cbranch_execnz .LBB0_79
	s_branch .LBB0_81
.LBB0_78:                               ;   in Loop: Header=BB0_3 Depth=1
	s_branch .LBB0_81
.LBB0_79:                               ;   Parent Loop BB0_3 Depth=1
                                        ; =>  This Inner Loop Header: Depth=2
	v_mov_b32_e32 v2, 1
	s_and_saveexec_b64 s[16:17], s[4:5]
	s_cbranch_execz .LBB0_76
; %bb.80:                               ;   in Loop: Header=BB0_79 Depth=2
	global_load_dword v2, v[32:33], off offset:20 glc
	s_waitcnt vmcnt(0)
	buffer_wbinvl1_vol
	v_and_b32_e32 v2, 1, v2
	s_branch .LBB0_76
.LBB0_81:                               ;   in Loop: Header=BB0_3 Depth=1
	global_load_dwordx4 v[0:3], v[0:1], off
	s_and_saveexec_b64 s[16:17], s[4:5]
	s_cbranch_execz .LBB0_2
; %bb.82:                               ;   in Loop: Header=BB0_3 Depth=1
	global_load_dwordx2 v[2:3], v29, s[12:13] offset:40
	global_load_dwordx2 v[17:18], v29, s[12:13] offset:24 glc
	global_load_dwordx2 v[9:10], v29, s[12:13]
	s_waitcnt vmcnt(2)
	v_readfirstlane_b32 s18, v2
	v_readfirstlane_b32 s19, v3
	s_add_u32 s20, s18, 1
	s_addc_u32 s21, s19, 0
	s_add_u32 s4, s20, s14
	s_addc_u32 s5, s21, s15
	s_cmp_eq_u64 s[4:5], 0
	s_cselect_b32 s5, s21, s5
	s_cselect_b32 s4, s20, s4
	s_and_b64 s[14:15], s[4:5], s[18:19]
	s_mul_i32 s15, s15, 24
	s_mul_hi_u32 s18, s14, 24
	s_mul_i32 s14, s14, 24
	s_add_i32 s15, s18, s15
	v_mov_b32_e32 v3, s15
	s_waitcnt vmcnt(0)
	v_add_co_u32_e32 v2, vcc, s14, v9
	v_addc_co_u32_e32 v3, vcc, v10, v3, vcc
	v_mov_b32_e32 v15, s4
	global_store_dwordx2 v[2:3], v[17:18], off
	v_mov_b32_e32 v16, s5
	s_waitcnt vmcnt(0)
	global_atomic_cmpswap_x2 v[15:16], v29, v[15:18], s[12:13] offset:24 glc
	s_waitcnt vmcnt(0)
	v_cmp_ne_u64_e32 vcc, v[15:16], v[17:18]
	s_and_b64 exec, exec, vcc
	s_cbranch_execz .LBB0_2
; %bb.83:                               ;   in Loop: Header=BB0_3 Depth=1
	s_mov_b64 s[14:15], 0
.LBB0_84:                               ;   Parent Loop BB0_3 Depth=1
                                        ; =>  This Inner Loop Header: Depth=2
	s_sleep 1
	global_store_dwordx2 v[2:3], v[15:16], off
	v_mov_b32_e32 v13, s4
	v_mov_b32_e32 v14, s5
	s_waitcnt vmcnt(0)
	global_atomic_cmpswap_x2 v[9:10], v29, v[13:16], s[12:13] offset:24 glc
	s_waitcnt vmcnt(0)
	v_cmp_eq_u64_e32 vcc, v[9:10], v[15:16]
	v_mov_b32_e32 v16, v10
	s_or_b64 s[14:15], vcc, s[14:15]
	v_mov_b32_e32 v15, v9
	s_andn2_b64 exec, exec, s[14:15]
	s_cbranch_execnz .LBB0_84
	s_branch .LBB0_2
.LBB0_85:
	s_or_b64 exec, exec, s[6:7]
                                        ; implicit-def: $vgpr0
                                        ; implicit-def: $vgpr1
                                        ; implicit-def: $vgpr2
.LBB0_86:
	s_andn2_saveexec_b64 s[6:7], s[10:11]
	s_cbranch_execz .LBB0_109
; %bb.87:
	s_load_dwordx2 s[8:9], s[8:9], 0x50
	s_waitcnt vmcnt(0)
	v_mbcnt_hi_u32_b32 v3, -1, v2
	v_readfirstlane_b32 s4, v3
	v_mov_b32_e32 v8, 0
	v_mov_b32_e32 v9, 0
	v_cmp_eq_u32_e64 s[4:5], s4, v3
	s_and_saveexec_b64 s[10:11], s[4:5]
	s_cbranch_execz .LBB0_93
; %bb.88:
	v_mov_b32_e32 v2, 0
	s_waitcnt lgkmcnt(0)
	global_load_dwordx2 v[6:7], v2, s[8:9] offset:24 glc
	s_waitcnt vmcnt(0)
	buffer_wbinvl1_vol
	global_load_dwordx2 v[4:5], v2, s[8:9] offset:40
	global_load_dwordx2 v[8:9], v2, s[8:9]
	s_waitcnt vmcnt(1)
	v_and_b32_e32 v4, v4, v6
	v_and_b32_e32 v5, v5, v7
	v_mul_lo_u32 v5, v5, 24
	v_mul_hi_u32 v10, v4, 24
	v_mul_lo_u32 v4, v4, 24
	v_add_u32_e32 v5, v10, v5
	s_waitcnt vmcnt(0)
	v_add_co_u32_e32 v4, vcc, v8, v4
	v_addc_co_u32_e32 v5, vcc, v9, v5, vcc
	global_load_dwordx2 v[4:5], v[4:5], off glc
	s_waitcnt vmcnt(0)
	global_atomic_cmpswap_x2 v[8:9], v2, v[4:7], s[8:9] offset:24 glc
	s_waitcnt vmcnt(0)
	buffer_wbinvl1_vol
	v_cmp_ne_u64_e32 vcc, v[8:9], v[6:7]
	s_and_saveexec_b64 s[12:13], vcc
	s_cbranch_execz .LBB0_92
; %bb.89:
	s_mov_b64 s[14:15], 0
.LBB0_90:                               ; =>This Inner Loop Header: Depth=1
	s_sleep 1
	global_load_dwordx2 v[4:5], v2, s[8:9] offset:40
	global_load_dwordx2 v[10:11], v2, s[8:9]
	v_mov_b32_e32 v6, v8
	v_mov_b32_e32 v7, v9
	s_waitcnt vmcnt(1)
	v_and_b32_e32 v4, v4, v6
	s_waitcnt vmcnt(0)
	v_mad_u64_u32 v[8:9], s[16:17], v4, 24, v[10:11]
	v_and_b32_e32 v5, v5, v7
	v_mov_b32_e32 v4, v9
	v_mad_u64_u32 v[4:5], s[16:17], v5, 24, v[4:5]
	v_mov_b32_e32 v9, v4
	global_load_dwordx2 v[4:5], v[8:9], off glc
	s_waitcnt vmcnt(0)
	global_atomic_cmpswap_x2 v[8:9], v2, v[4:7], s[8:9] offset:24 glc
	s_waitcnt vmcnt(0)
	buffer_wbinvl1_vol
	v_cmp_eq_u64_e32 vcc, v[8:9], v[6:7]
	s_or_b64 s[14:15], vcc, s[14:15]
	s_andn2_b64 exec, exec, s[14:15]
	s_cbranch_execnz .LBB0_90
; %bb.91:
	s_or_b64 exec, exec, s[14:15]
.LBB0_92:
	s_or_b64 exec, exec, s[12:13]
.LBB0_93:
	s_or_b64 exec, exec, s[10:11]
	v_mov_b32_e32 v2, 0
	s_waitcnt lgkmcnt(0)
	global_load_dwordx2 v[10:11], v2, s[8:9] offset:40
	global_load_dwordx4 v[4:7], v2, s[8:9]
	v_readfirstlane_b32 s11, v9
	v_readfirstlane_b32 s10, v8
	s_mov_b64 s[12:13], exec
	s_waitcnt vmcnt(1)
	v_readfirstlane_b32 s14, v10
	v_readfirstlane_b32 s15, v11
	s_and_b64 s[14:15], s[14:15], s[10:11]
	s_mul_i32 s16, s15, 24
	s_mul_hi_u32 s17, s14, 24
	s_mul_i32 s18, s14, 24
	s_add_i32 s16, s17, s16
	v_mov_b32_e32 v9, s16
	s_waitcnt vmcnt(0)
	v_add_co_u32_e32 v8, vcc, s18, v4
	v_addc_co_u32_e32 v9, vcc, v5, v9, vcc
	s_and_saveexec_b64 s[16:17], s[4:5]
	s_cbranch_execz .LBB0_95
; %bb.94:
	v_mov_b32_e32 v10, s12
	v_mov_b32_e32 v11, s13
	;; [unrolled: 1-line block ×4, first 2 shown]
	global_store_dwordx4 v[8:9], v[10:13], off offset:8
.LBB0_95:
	s_or_b64 exec, exec, s[16:17]
	s_lshl_b64 s[12:13], s[14:15], 12
	v_mov_b32_e32 v10, s13
	v_add_co_u32_e32 v6, vcc, s12, v6
	v_addc_co_u32_e32 v7, vcc, v7, v10, vcc
	s_movk_i32 s12, 0xff1f
	v_and_or_b32 v0, v0, s12, 32
	v_lshlrev_b32_e32 v10, 6, v3
	s_mov_b32 s12, 0
	v_mov_b32_e32 v3, v2
	v_readfirstlane_b32 s16, v6
	v_readfirstlane_b32 s17, v7
	s_mov_b32 s13, s12
	s_mov_b32 s14, s12
	;; [unrolled: 1-line block ×3, first 2 shown]
	s_nop 1
	global_store_dwordx4 v10, v[0:3], s[16:17]
	s_nop 0
	v_mov_b32_e32 v0, s12
	v_mov_b32_e32 v1, s13
	;; [unrolled: 1-line block ×4, first 2 shown]
	global_store_dwordx4 v10, v[0:3], s[16:17] offset:16
	global_store_dwordx4 v10, v[0:3], s[16:17] offset:32
	;; [unrolled: 1-line block ×3, first 2 shown]
	s_and_saveexec_b64 s[12:13], s[4:5]
	s_cbranch_execz .LBB0_103
; %bb.96:
	v_mov_b32_e32 v6, 0
	global_load_dwordx2 v[12:13], v6, s[8:9] offset:32 glc
	global_load_dwordx2 v[0:1], v6, s[8:9] offset:40
	v_mov_b32_e32 v10, s10
	v_mov_b32_e32 v11, s11
	s_waitcnt vmcnt(0)
	v_and_b32_e32 v0, s10, v0
	v_and_b32_e32 v1, s11, v1
	v_mul_lo_u32 v1, v1, 24
	v_mul_hi_u32 v2, v0, 24
	v_mul_lo_u32 v0, v0, 24
	v_add_u32_e32 v1, v2, v1
	v_add_co_u32_e32 v4, vcc, v4, v0
	v_addc_co_u32_e32 v5, vcc, v5, v1, vcc
	global_store_dwordx2 v[4:5], v[12:13], off
	s_waitcnt vmcnt(0)
	global_atomic_cmpswap_x2 v[2:3], v6, v[10:13], s[8:9] offset:32 glc
	s_waitcnt vmcnt(0)
	v_cmp_ne_u64_e32 vcc, v[2:3], v[12:13]
	s_and_saveexec_b64 s[14:15], vcc
	s_cbranch_execz .LBB0_99
; %bb.97:
	s_mov_b64 s[16:17], 0
.LBB0_98:                               ; =>This Inner Loop Header: Depth=1
	s_sleep 1
	global_store_dwordx2 v[4:5], v[2:3], off
	v_mov_b32_e32 v0, s10
	v_mov_b32_e32 v1, s11
	s_waitcnt vmcnt(0)
	global_atomic_cmpswap_x2 v[0:1], v6, v[0:3], s[8:9] offset:32 glc
	s_waitcnt vmcnt(0)
	v_cmp_eq_u64_e32 vcc, v[0:1], v[2:3]
	v_mov_b32_e32 v3, v1
	s_or_b64 s[16:17], vcc, s[16:17]
	v_mov_b32_e32 v2, v0
	s_andn2_b64 exec, exec, s[16:17]
	s_cbranch_execnz .LBB0_98
.LBB0_99:
	s_or_b64 exec, exec, s[14:15]
	v_mov_b32_e32 v3, 0
	global_load_dwordx2 v[0:1], v3, s[8:9] offset:16
	s_mov_b64 s[14:15], exec
	v_mbcnt_lo_u32_b32 v2, s14, 0
	v_mbcnt_hi_u32_b32 v2, s15, v2
	v_cmp_eq_u32_e32 vcc, 0, v2
	s_and_saveexec_b64 s[16:17], vcc
	s_cbranch_execz .LBB0_101
; %bb.100:
	s_bcnt1_i32_b64 s14, s[14:15]
	v_mov_b32_e32 v2, s14
	s_waitcnt vmcnt(0)
	global_atomic_add_x2 v[0:1], v[2:3], off offset:8
.LBB0_101:
	s_or_b64 exec, exec, s[16:17]
	s_waitcnt vmcnt(0)
	global_load_dwordx2 v[2:3], v[0:1], off offset:16
	s_waitcnt vmcnt(0)
	v_cmp_eq_u64_e32 vcc, 0, v[2:3]
	s_cbranch_vccnz .LBB0_103
; %bb.102:
	global_load_dword v0, v[0:1], off offset:24
	v_mov_b32_e32 v1, 0
	s_waitcnt vmcnt(0)
	v_readfirstlane_b32 s14, v0
	s_and_b32 m0, s14, 0xffffff
	global_store_dwordx2 v[2:3], v[0:1], off
	s_sendmsg sendmsg(MSG_INTERRUPT)
.LBB0_103:
	s_or_b64 exec, exec, s[12:13]
	s_branch .LBB0_107
.LBB0_104:                              ;   in Loop: Header=BB0_107 Depth=1
	s_or_b64 exec, exec, s[12:13]
	v_readfirstlane_b32 s12, v0
	s_cmp_eq_u32 s12, 0
	s_cbranch_scc1 .LBB0_106
; %bb.105:                              ;   in Loop: Header=BB0_107 Depth=1
	s_sleep 1
	s_cbranch_execnz .LBB0_107
	s_branch .LBB0_110
.LBB0_106:
	s_branch .LBB0_110
.LBB0_107:                              ; =>This Inner Loop Header: Depth=1
	v_mov_b32_e32 v0, 1
	s_and_saveexec_b64 s[12:13], s[4:5]
	s_cbranch_execz .LBB0_104
; %bb.108:                              ;   in Loop: Header=BB0_107 Depth=1
	global_load_dword v0, v[8:9], off offset:20 glc
	s_waitcnt vmcnt(0)
	buffer_wbinvl1_vol
	v_and_b32_e32 v0, 1, v0
	s_branch .LBB0_104
.LBB0_109:
	s_or_b64 exec, exec, s[6:7]
	s_waitcnt vmcnt(0) lgkmcnt(0)
	s_setpc_b64 s[30:31]
.LBB0_110:
	s_and_saveexec_b64 s[12:13], s[4:5]
	s_cbranch_execz .LBB0_113
; %bb.111:
	v_mov_b32_e32 v6, 0
	global_load_dwordx2 v[0:1], v6, s[8:9] offset:40
	global_load_dwordx2 v[9:10], v6, s[8:9] offset:24 glc
	global_load_dwordx2 v[2:3], v6, s[8:9]
	s_waitcnt vmcnt(2)
	v_readfirstlane_b32 s14, v0
	v_readfirstlane_b32 s15, v1
	s_add_u32 s16, s14, 1
	s_addc_u32 s17, s15, 0
	s_add_u32 s4, s16, s10
	s_addc_u32 s5, s17, s11
	s_cmp_eq_u64 s[4:5], 0
	s_cselect_b32 s5, s17, s5
	s_cselect_b32 s4, s16, s4
	s_and_b64 s[10:11], s[4:5], s[14:15]
	s_mul_i32 s11, s11, 24
	s_mul_hi_u32 s14, s10, 24
	s_mul_i32 s10, s10, 24
	s_add_i32 s11, s14, s11
	v_mov_b32_e32 v0, s11
	s_waitcnt vmcnt(0)
	v_add_co_u32_e32 v4, vcc, s10, v2
	v_addc_co_u32_e32 v5, vcc, v3, v0, vcc
	v_mov_b32_e32 v7, s4
	global_store_dwordx2 v[4:5], v[9:10], off
	v_mov_b32_e32 v8, s5
	s_waitcnt vmcnt(0)
	global_atomic_cmpswap_x2 v[2:3], v6, v[7:10], s[8:9] offset:24 glc
	s_mov_b64 s[10:11], 0
	s_waitcnt vmcnt(0)
	v_cmp_ne_u64_e32 vcc, v[2:3], v[9:10]
	s_and_b64 exec, exec, vcc
	s_cbranch_execz .LBB0_113
.LBB0_112:                              ; =>This Inner Loop Header: Depth=1
	s_sleep 1
	global_store_dwordx2 v[4:5], v[2:3], off
	v_mov_b32_e32 v0, s4
	v_mov_b32_e32 v1, s5
	s_waitcnt vmcnt(0)
	global_atomic_cmpswap_x2 v[0:1], v6, v[0:3], s[8:9] offset:24 glc
	s_waitcnt vmcnt(0)
	v_cmp_eq_u64_e32 vcc, v[0:1], v[2:3]
	v_mov_b32_e32 v3, v1
	s_or_b64 s[10:11], vcc, s[10:11]
	v_mov_b32_e32 v2, v0
	s_andn2_b64 exec, exec, s[10:11]
	s_cbranch_execnz .LBB0_112
.LBB0_113:
	s_or_b64 exec, exec, s[12:13]
	s_or_b64 exec, exec, s[6:7]
	s_waitcnt vmcnt(0) lgkmcnt(0)
	s_setpc_b64 s[30:31]
.Lfunc_end0:
	.size	__ockl_fprintf_append_string_n, .Lfunc_end0-__ockl_fprintf_append_string_n
                                        ; -- End function
	.set .L__ockl_fprintf_append_string_n.num_vgpr, 37
	.set .L__ockl_fprintf_append_string_n.num_agpr, 0
	.set .L__ockl_fprintf_append_string_n.numbered_sgpr, 32
	.set .L__ockl_fprintf_append_string_n.num_named_barrier, 0
	.set .L__ockl_fprintf_append_string_n.private_seg_size, 0
	.set .L__ockl_fprintf_append_string_n.uses_vcc, 1
	.set .L__ockl_fprintf_append_string_n.uses_flat_scratch, 0
	.set .L__ockl_fprintf_append_string_n.has_dyn_sized_stack, 0
	.set .L__ockl_fprintf_append_string_n.has_recursion, 0
	.set .L__ockl_fprintf_append_string_n.has_indirect_call, 0
	.section	.AMDGPU.csdata,"",@progbits
; Function info:
; codeLenInByte = 3868
; TotalNumSgprs: 36
; NumVgprs: 37
; ScratchSize: 0
; MemoryBound: 0
	.text
	.p2align	2                               ; -- Begin function __assert_fail
	.type	__assert_fail,@function
__assert_fail:                          ; @__assert_fail
; %bb.0:
	s_waitcnt vmcnt(0) expcnt(0) lgkmcnt(0)
	s_mov_b32 s25, s33
	s_mov_b32 s33, s32
	s_or_saveexec_b64 s[4:5], -1
	buffer_store_dword v40, off, s[0:3], s33 offset:48 ; 4-byte Folded Spill
	s_mov_b64 exec, s[4:5]
	v_writelane_b32 v40, s30, 0
	s_addk_i32 s32, 0x1000
	v_writelane_b32 v40, s31, 1
	v_mov_b32_e32 v13, 0
	s_getpc_b64 s[4:5]
	s_add_u32 s4, s4, __const.__assert_fail.fmt@rel32@lo+35
	s_addc_u32 s5, s5, __const.__assert_fail.fmt@rel32@hi+43
	global_load_dwordx4 v[9:12], v13, s[4:5]
	s_getpc_b64 s[16:17]
	s_add_u32 s16, s16, __const.__assert_fail.fmt@rel32@lo+4
	s_addc_u32 s17, s17, __const.__assert_fail.fmt@rel32@hi+12
	s_getpc_b64 s[18:19]
	s_add_u32 s18, s18, __const.__assert_fail.fmt@rel32@lo+20
	s_addc_u32 s19, s19, __const.__assert_fail.fmt@rel32@hi+28
	v_mbcnt_lo_u32_b32 v14, -1, 0
	s_load_dwordx4 s[4:7], s[16:17], 0x0
	s_load_dwordx4 s[12:15], s[18:19], 0x0
	s_load_dwordx2 s[10:11], s[8:9], 0x50
	v_mbcnt_hi_u32_b32 v38, -1, v14
	v_mov_b32_e32 v8, v1
	v_mov_b32_e32 v7, v0
	;; [unrolled: 1-line block ×3, first 2 shown]
	v_readfirstlane_b32 s16, v38
	v_mov_b32_e32 v1, 0
	s_waitcnt lgkmcnt(0)
	v_mov_b32_e32 v14, s7
	v_mov_b32_e32 v16, s5
	;; [unrolled: 1-line block ×3, first 2 shown]
	v_cmp_eq_u32_e64 s[4:5], s16, v38
	v_mov_b32_e32 v15, s6
	v_mov_b32_e32 v18, s15
	;; [unrolled: 1-line block ×5, first 2 shown]
	buffer_store_dword v14, off, s[0:3], s33 offset:12
	buffer_store_dword v15, off, s[0:3], s33 offset:8
	;; [unrolled: 1-line block ×3, first 2 shown]
	buffer_store_dword v17, off, s[0:3], s33
	buffer_store_dword v18, off, s[0:3], s33 offset:28
	buffer_store_dword v19, off, s[0:3], s33 offset:24
	;; [unrolled: 1-line block ×4, first 2 shown]
	s_waitcnt vmcnt(8)
	buffer_store_dword v12, off, s[0:3], s33 offset:43
	buffer_store_dword v11, off, s[0:3], s33 offset:39
	;; [unrolled: 1-line block ×4, first 2 shown]
	s_and_saveexec_b64 s[6:7], s[4:5]
	s_cbranch_execz .LBB1_6
; %bb.1:
	global_load_dwordx2 v[11:12], v13, s[10:11] offset:24 glc
	s_waitcnt vmcnt(0)
	buffer_wbinvl1_vol
	global_load_dwordx2 v[0:1], v13, s[10:11] offset:40
	global_load_dwordx2 v[9:10], v13, s[10:11]
	s_waitcnt vmcnt(1)
	v_and_b32_e32 v0, v0, v11
	v_and_b32_e32 v1, v1, v12
	v_mul_lo_u32 v1, v1, 24
	v_mul_hi_u32 v14, v0, 24
	v_mul_lo_u32 v0, v0, 24
	v_add_u32_e32 v1, v14, v1
	s_waitcnt vmcnt(0)
	v_add_co_u32_e32 v0, vcc, v9, v0
	v_addc_co_u32_e32 v1, vcc, v10, v1, vcc
	global_load_dwordx2 v[9:10], v[0:1], off glc
	s_waitcnt vmcnt(0)
	global_atomic_cmpswap_x2 v[0:1], v13, v[9:12], s[10:11] offset:24 glc
	s_waitcnt vmcnt(0)
	buffer_wbinvl1_vol
	v_cmp_ne_u64_e32 vcc, v[0:1], v[11:12]
	s_and_saveexec_b64 s[12:13], vcc
	s_cbranch_execz .LBB1_5
; %bb.2:
	s_mov_b64 s[14:15], 0
	v_mov_b32_e32 v9, 0
.LBB1_3:                                ; =>This Inner Loop Header: Depth=1
	s_sleep 1
	global_load_dwordx2 v[10:11], v9, s[10:11] offset:40
	global_load_dwordx2 v[14:15], v9, s[10:11]
	v_mov_b32_e32 v17, v1
	v_mov_b32_e32 v16, v0
	s_waitcnt vmcnt(1)
	v_and_b32_e32 v0, v10, v16
	s_waitcnt vmcnt(0)
	v_mad_u64_u32 v[0:1], s[16:17], v0, 24, v[14:15]
	v_and_b32_e32 v10, v11, v17
	v_mad_u64_u32 v[10:11], s[16:17], v10, 24, v[1:2]
	v_mov_b32_e32 v1, v10
	global_load_dwordx2 v[14:15], v[0:1], off glc
	s_waitcnt vmcnt(0)
	global_atomic_cmpswap_x2 v[0:1], v9, v[14:17], s[10:11] offset:24 glc
	s_waitcnt vmcnt(0)
	buffer_wbinvl1_vol
	v_cmp_eq_u64_e32 vcc, v[0:1], v[16:17]
	s_or_b64 s[14:15], vcc, s[14:15]
	s_andn2_b64 exec, exec, s[14:15]
	s_cbranch_execnz .LBB1_3
; %bb.4:
	s_or_b64 exec, exec, s[14:15]
.LBB1_5:
	s_or_b64 exec, exec, s[12:13]
.LBB1_6:
	s_or_b64 exec, exec, s[6:7]
	global_load_dwordx2 v[14:15], v13, s[10:11] offset:40
	global_load_dwordx4 v[9:12], v13, s[10:11]
	v_readfirstlane_b32 s7, v1
	v_readfirstlane_b32 s6, v0
	s_mov_b64 s[12:13], exec
	s_waitcnt vmcnt(1)
	v_readfirstlane_b32 s14, v14
	v_readfirstlane_b32 s15, v15
	s_and_b64 s[14:15], s[14:15], s[6:7]
	s_mul_i32 s16, s15, 24
	s_mul_hi_u32 s17, s14, 24
	s_mul_i32 s18, s14, 24
	s_add_i32 s16, s17, s16
	v_mov_b32_e32 v1, s16
	s_waitcnt vmcnt(0)
	v_add_co_u32_e32 v0, vcc, s18, v9
	v_addc_co_u32_e32 v1, vcc, v10, v1, vcc
	s_and_saveexec_b64 s[16:17], s[4:5]
	s_cbranch_execz .LBB1_8
; %bb.7:
	v_mov_b32_e32 v14, s13
	v_mov_b32_e32 v13, s12
	;; [unrolled: 1-line block ×4, first 2 shown]
	global_store_dwordx4 v[0:1], v[13:16], off offset:8
.LBB1_8:
	s_or_b64 exec, exec, s[16:17]
	s_lshl_b64 s[12:13], s[14:15], 12
	v_mov_b32_e32 v13, s13
	v_add_co_u32_e32 v17, vcc, s12, v11
	v_addc_co_u32_e32 v18, vcc, v12, v13, vcc
	v_lshlrev_b32_e32 v39, 6, v38
	s_mov_b32 s12, 0
	v_add_co_u32_e32 v15, vcc, v17, v39
	s_mov_b32 s15, s12
	v_mov_b32_e32 v12, 0
	v_addc_co_u32_e32 v16, vcc, 0, v18, vcc
	v_readfirstlane_b32 s16, v17
	v_readfirstlane_b32 s17, v18
	s_mov_b32 s13, s12
	s_mov_b32 s14, s12
	v_mov_b32_e32 v20, s15
	v_mov_b32_e32 v11, 33
	;; [unrolled: 1-line block ×7, first 2 shown]
	global_store_dwordx4 v39, v[11:14], s[16:17]
	global_store_dwordx4 v39, v[17:20], s[16:17] offset:16
	global_store_dwordx4 v39, v[17:20], s[16:17] offset:32
	global_store_dwordx4 v39, v[17:20], s[16:17] offset:48
	s_and_saveexec_b64 s[12:13], s[4:5]
	s_cbranch_execz .LBB1_16
; %bb.9:
	global_load_dwordx2 v[19:20], v12, s[10:11] offset:32 glc
	global_load_dwordx2 v[13:14], v12, s[10:11] offset:40
	v_mov_b32_e32 v17, s6
	v_mov_b32_e32 v18, s7
	s_waitcnt vmcnt(0)
	v_and_b32_e32 v11, s6, v13
	v_and_b32_e32 v13, s7, v14
	v_mul_lo_u32 v13, v13, 24
	v_mul_hi_u32 v14, v11, 24
	v_mul_lo_u32 v11, v11, 24
	v_add_u32_e32 v14, v14, v13
	v_add_co_u32_e32 v13, vcc, v9, v11
	v_addc_co_u32_e32 v14, vcc, v10, v14, vcc
	global_store_dwordx2 v[13:14], v[19:20], off
	s_waitcnt vmcnt(0)
	global_atomic_cmpswap_x2 v[11:12], v12, v[17:20], s[10:11] offset:32 glc
	s_waitcnt vmcnt(0)
	v_cmp_ne_u64_e32 vcc, v[11:12], v[19:20]
	s_and_saveexec_b64 s[14:15], vcc
	s_cbranch_execz .LBB1_12
; %bb.10:
	s_mov_b64 s[16:17], 0
	v_mov_b32_e32 v17, 0
.LBB1_11:                               ; =>This Inner Loop Header: Depth=1
	s_sleep 1
	global_store_dwordx2 v[13:14], v[11:12], off
	v_mov_b32_e32 v9, s6
	v_mov_b32_e32 v10, s7
	s_waitcnt vmcnt(0)
	global_atomic_cmpswap_x2 v[9:10], v17, v[9:12], s[10:11] offset:32 glc
	s_waitcnt vmcnt(0)
	v_cmp_eq_u64_e32 vcc, v[9:10], v[11:12]
	v_mov_b32_e32 v12, v10
	s_or_b64 s[16:17], vcc, s[16:17]
	v_mov_b32_e32 v11, v9
	s_andn2_b64 exec, exec, s[16:17]
	s_cbranch_execnz .LBB1_11
.LBB1_12:
	s_or_b64 exec, exec, s[14:15]
	v_mov_b32_e32 v12, 0
	global_load_dwordx2 v[9:10], v12, s[10:11] offset:16
	s_mov_b64 s[14:15], exec
	v_mbcnt_lo_u32_b32 v11, s14, 0
	v_mbcnt_hi_u32_b32 v11, s15, v11
	v_cmp_eq_u32_e32 vcc, 0, v11
	s_and_saveexec_b64 s[16:17], vcc
	s_cbranch_execz .LBB1_14
; %bb.13:
	s_bcnt1_i32_b64 s14, s[14:15]
	v_mov_b32_e32 v11, s14
	s_waitcnt vmcnt(0)
	global_atomic_add_x2 v[9:10], v[11:12], off offset:8
.LBB1_14:
	s_or_b64 exec, exec, s[16:17]
	s_waitcnt vmcnt(0)
	global_load_dwordx2 v[11:12], v[9:10], off offset:16
	s_waitcnt vmcnt(0)
	v_cmp_eq_u64_e32 vcc, 0, v[11:12]
	s_cbranch_vccnz .LBB1_16
; %bb.15:
	global_load_dword v9, v[9:10], off offset:24
	v_mov_b32_e32 v10, 0
	s_waitcnt vmcnt(0)
	v_readfirstlane_b32 s14, v9
	s_and_b32 m0, s14, 0xffffff
	global_store_dwordx2 v[11:12], v[9:10], off
	s_sendmsg sendmsg(MSG_INTERRUPT)
.LBB1_16:
	s_or_b64 exec, exec, s[12:13]
	s_branch .LBB1_20
.LBB1_17:                               ;   in Loop: Header=BB1_20 Depth=1
	s_or_b64 exec, exec, s[12:13]
	v_readfirstlane_b32 s12, v9
	s_cmp_eq_u32 s12, 0
	s_cbranch_scc1 .LBB1_19
; %bb.18:                               ;   in Loop: Header=BB1_20 Depth=1
	s_sleep 1
	s_cbranch_execnz .LBB1_20
	s_branch .LBB1_22
.LBB1_19:
	s_branch .LBB1_22
.LBB1_20:                               ; =>This Inner Loop Header: Depth=1
	v_mov_b32_e32 v9, 1
	s_and_saveexec_b64 s[12:13], s[4:5]
	s_cbranch_execz .LBB1_17
; %bb.21:                               ;   in Loop: Header=BB1_20 Depth=1
	global_load_dword v9, v[0:1], off offset:20 glc
	s_waitcnt vmcnt(0)
	buffer_wbinvl1_vol
	v_and_b32_e32 v9, 1, v9
	s_branch .LBB1_17
.LBB1_22:
	global_load_dwordx2 v[13:14], v[15:16], off
	s_and_saveexec_b64 s[12:13], s[4:5]
	s_cbranch_execz .LBB1_25
; %bb.23:
	v_mov_b32_e32 v15, 0
	global_load_dwordx2 v[0:1], v15, s[10:11] offset:40
	global_load_dwordx2 v[18:19], v15, s[10:11] offset:24 glc
	global_load_dwordx2 v[9:10], v15, s[10:11]
	s_waitcnt vmcnt(2)
	v_readfirstlane_b32 s14, v0
	v_readfirstlane_b32 s15, v1
	s_add_u32 s16, s14, 1
	s_addc_u32 s17, s15, 0
	s_add_u32 s4, s16, s6
	s_addc_u32 s5, s17, s7
	s_cmp_eq_u64 s[4:5], 0
	s_cselect_b32 s5, s17, s5
	s_cselect_b32 s4, s16, s4
	s_and_b64 s[6:7], s[4:5], s[14:15]
	s_mul_i32 s7, s7, 24
	s_mul_hi_u32 s14, s6, 24
	s_mul_i32 s6, s6, 24
	s_add_i32 s7, s14, s7
	v_mov_b32_e32 v1, s7
	s_waitcnt vmcnt(0)
	v_add_co_u32_e32 v0, vcc, s6, v9
	v_addc_co_u32_e32 v1, vcc, v10, v1, vcc
	v_mov_b32_e32 v16, s4
	global_store_dwordx2 v[0:1], v[18:19], off
	v_mov_b32_e32 v17, s5
	s_waitcnt vmcnt(0)
	global_atomic_cmpswap_x2 v[11:12], v15, v[16:19], s[10:11] offset:24 glc
	s_mov_b64 s[6:7], 0
	s_waitcnt vmcnt(0)
	v_cmp_ne_u64_e32 vcc, v[11:12], v[18:19]
	s_and_b64 exec, exec, vcc
	s_cbranch_execz .LBB1_25
.LBB1_24:                               ; =>This Inner Loop Header: Depth=1
	s_sleep 1
	global_store_dwordx2 v[0:1], v[11:12], off
	v_mov_b32_e32 v9, s4
	v_mov_b32_e32 v10, s5
	s_waitcnt vmcnt(0)
	global_atomic_cmpswap_x2 v[9:10], v15, v[9:12], s[10:11] offset:24 glc
	s_waitcnt vmcnt(0)
	v_cmp_eq_u64_e32 vcc, v[9:10], v[11:12]
	v_mov_b32_e32 v12, v10
	s_or_b64 s[6:7], vcc, s[6:7]
	v_mov_b32_e32 v11, v9
	s_andn2_b64 exec, exec, s[6:7]
	s_cbranch_execnz .LBB1_24
.LBB1_25:
	s_or_b64 exec, exec, s[12:13]
	s_lshr_b32 s6, s33, 6
	s_mov_b64 s[4:5], 0
.LBB1_26:                               ; =>This Inner Loop Header: Depth=1
	v_mov_b32_e32 v0, s6
	buffer_load_ubyte v1, v0, s[0:3], 0 offen
	s_add_i32 s6, s6, 1
	v_mov_b32_e32 v0, s6
	s_waitcnt vmcnt(0)
	v_cmp_eq_u16_e32 vcc, 0, v1
	s_or_b64 s[4:5], vcc, s[4:5]
	s_andn2_b64 exec, exec, s[4:5]
	s_cbranch_execnz .LBB1_26
; %bb.27:
	s_or_b64 exec, exec, s[4:5]
	s_lshr_b32 s4, s33, 6
	s_cmp_lg_u32 s4, -1
	s_cbranch_scc0 .LBB1_112
; %bb.28:
	v_lshrrev_b32_e64 v1, 6, s33
	v_subrev_u32_e32 v0, v1, v0
	v_ashrrev_i32_e32 v1, 31, v0
	v_and_b32_e32 v48, 2, v13
	v_mov_b32_e32 v35, 0
	v_and_b32_e32 v9, -3, v13
	v_mov_b32_e32 v10, v14
	s_mov_b64 s[12:13], 0
	v_lshrrev_b32_e64 v49, 6, s33
	s_mov_b32 s20, 0
	s_movk_i32 s21, 0x1e0
	v_mov_b32_e32 v17, 2
	v_mov_b32_e32 v18, 1
	s_branch .LBB1_30
.LBB1_29:                               ;   in Loop: Header=BB1_30 Depth=1
	s_or_b64 exec, exec, s[6:7]
	v_sub_co_u32_e32 v0, vcc, v0, v50
	v_subb_co_u32_e32 v1, vcc, v1, v51, vcc
	v_cmp_eq_u64_e32 vcc, 0, v[0:1]
	v_add_u32_e32 v49, v49, v50
	s_or_b64 s[12:13], vcc, s[12:13]
	s_andn2_b64 exec, exec, s[12:13]
	s_cbranch_execz .LBB1_113
.LBB1_30:                               ; =>This Loop Header: Depth=1
                                        ;     Child Loop BB1_33 Depth 2
                                        ;     Child Loop BB1_41 Depth 2
	;; [unrolled: 1-line block ×11, first 2 shown]
	v_cmp_gt_u64_e32 vcc, 56, v[0:1]
	v_cmp_gt_u64_e64 s[4:5], 8, v[0:1]
	v_cndmask_b32_e32 v50, 56, v0, vcc
	v_add_u32_e32 v16, 8, v49
	s_and_saveexec_b64 s[6:7], s[4:5]
	s_xor_b64 s[6:7], exec, s[6:7]
	s_cbranch_execz .LBB1_36
; %bb.31:                               ;   in Loop: Header=BB1_30 Depth=1
	v_mov_b32_e32 v11, 0
	v_cmp_ne_u64_e64 s[4:5], 0, v[0:1]
	v_mov_b32_e32 v12, 0
	s_and_saveexec_b64 s[14:15], s[4:5]
	s_cbranch_execz .LBB1_35
; %bb.32:                               ;   in Loop: Header=BB1_30 Depth=1
	v_mov_b32_e32 v11, 0
	s_mov_b32 s22, 0
	s_mov_b64 s[16:17], 0
	v_mov_b32_e32 v12, 0
	s_mov_b64 s[18:19], 0
.LBB1_33:                               ;   Parent Loop BB1_30 Depth=1
                                        ; =>  This Inner Loop Header: Depth=2
	v_add_u32_e32 v15, s22, v49
	buffer_load_ubyte v15, v15, s[0:3], 0 offen
	v_mov_b32_e32 v16, s20
	s_add_i32 s22, s22, 1
	v_cmp_eq_u32_e64 s[4:5], s22, v50
	s_waitcnt vmcnt(0)
	v_and_b32_e32 v15, 0xffff, v15
	v_lshlrev_b64 v[15:16], s18, v[15:16]
	s_add_u32 s18, s18, 8
	s_addc_u32 s19, s19, 0
	v_or_b32_e32 v12, v16, v12
	s_or_b64 s[16:17], s[4:5], s[16:17]
	v_or_b32_e32 v11, v15, v11
	s_andn2_b64 exec, exec, s[16:17]
	s_cbranch_execnz .LBB1_33
; %bb.34:                               ;   in Loop: Header=BB1_30 Depth=1
	s_or_b64 exec, exec, s[16:17]
.LBB1_35:                               ;   in Loop: Header=BB1_30 Depth=1
	s_or_b64 exec, exec, s[14:15]
	v_mov_b32_e32 v16, v49
.LBB1_36:                               ;   in Loop: Header=BB1_30 Depth=1
	s_or_saveexec_b64 s[4:5], s[6:7]
	v_mov_b32_e32 v21, 0
	s_xor_b64 exec, exec, s[4:5]
	s_cbranch_execz .LBB1_38
; %bb.37:                               ;   in Loop: Header=BB1_30 Depth=1
	buffer_load_dword v11, v49, s[0:3], 0 offen
	buffer_load_dword v12, v49, s[0:3], 0 offen offset:4
	v_add_u32_e32 v21, -8, v50
.LBB1_38:                               ;   in Loop: Header=BB1_30 Depth=1
	s_or_b64 exec, exec, s[4:5]
	v_cmp_gt_u32_e64 s[4:5], 8, v21
	v_add_u32_e32 v15, 8, v16
                                        ; implicit-def: $vgpr19_vgpr20
	s_and_saveexec_b64 s[6:7], s[4:5]
	s_xor_b64 s[6:7], exec, s[6:7]
	s_cbranch_execz .LBB1_44
; %bb.39:                               ;   in Loop: Header=BB1_30 Depth=1
	v_mov_b32_e32 v19, 0
	v_mov_b32_e32 v20, 0
	v_cmp_ne_u32_e64 s[4:5], 0, v21
	s_and_saveexec_b64 s[14:15], s[4:5]
	s_cbranch_execz .LBB1_43
; %bb.40:                               ;   in Loop: Header=BB1_30 Depth=1
	v_mov_b32_e32 v19, 0
	s_mov_b32 s22, 0
	s_mov_b64 s[16:17], 0
	v_mov_b32_e32 v20, 0
	s_mov_b64 s[18:19], 0
.LBB1_41:                               ;   Parent Loop BB1_30 Depth=1
                                        ; =>  This Inner Loop Header: Depth=2
	v_add_u32_e32 v15, s22, v16
	buffer_load_ubyte v15, v15, s[0:3], 0 offen
	v_mov_b32_e32 v23, s20
	s_add_i32 s22, s22, 1
	v_cmp_eq_u32_e64 s[4:5], s22, v21
	s_waitcnt vmcnt(0)
	v_and_b32_e32 v22, 0xffff, v15
	v_lshlrev_b64 v[22:23], s18, v[22:23]
	s_add_u32 s18, s18, 8
	s_addc_u32 s19, s19, 0
	v_or_b32_e32 v20, v23, v20
	s_or_b64 s[16:17], s[4:5], s[16:17]
	v_or_b32_e32 v19, v22, v19
	s_andn2_b64 exec, exec, s[16:17]
	s_cbranch_execnz .LBB1_41
; %bb.42:                               ;   in Loop: Header=BB1_30 Depth=1
	s_or_b64 exec, exec, s[16:17]
.LBB1_43:                               ;   in Loop: Header=BB1_30 Depth=1
	s_or_b64 exec, exec, s[14:15]
	v_mov_b32_e32 v15, v16
                                        ; implicit-def: $vgpr21
.LBB1_44:                               ;   in Loop: Header=BB1_30 Depth=1
	s_or_saveexec_b64 s[4:5], s[6:7]
	v_mov_b32_e32 v23, 0
	s_xor_b64 exec, exec, s[4:5]
	s_cbranch_execz .LBB1_46
; %bb.45:                               ;   in Loop: Header=BB1_30 Depth=1
	buffer_load_dword v19, v16, s[0:3], 0 offen
	buffer_load_dword v20, v16, s[0:3], 0 offen offset:4
	v_add_u32_e32 v23, -8, v21
.LBB1_46:                               ;   in Loop: Header=BB1_30 Depth=1
	s_or_b64 exec, exec, s[4:5]
	v_cmp_gt_u32_e64 s[4:5], 8, v23
	v_add_u32_e32 v16, 8, v15
	s_and_saveexec_b64 s[6:7], s[4:5]
	s_xor_b64 s[6:7], exec, s[6:7]
	s_cbranch_execz .LBB1_52
; %bb.47:                               ;   in Loop: Header=BB1_30 Depth=1
	v_mov_b32_e32 v21, 0
	v_mov_b32_e32 v22, 0
	v_cmp_ne_u32_e64 s[4:5], 0, v23
	s_and_saveexec_b64 s[14:15], s[4:5]
	s_cbranch_execz .LBB1_51
; %bb.48:                               ;   in Loop: Header=BB1_30 Depth=1
	v_mov_b32_e32 v21, 0
	s_mov_b32 s22, 0
	s_mov_b64 s[16:17], 0
	v_mov_b32_e32 v22, 0
	s_mov_b64 s[18:19], 0
.LBB1_49:                               ;   Parent Loop BB1_30 Depth=1
                                        ; =>  This Inner Loop Header: Depth=2
	v_add_u32_e32 v16, s22, v15
	buffer_load_ubyte v16, v16, s[0:3], 0 offen
	v_mov_b32_e32 v25, s20
	s_add_i32 s22, s22, 1
	v_cmp_eq_u32_e64 s[4:5], s22, v23
	s_waitcnt vmcnt(0)
	v_and_b32_e32 v24, 0xffff, v16
	v_lshlrev_b64 v[24:25], s18, v[24:25]
	s_add_u32 s18, s18, 8
	s_addc_u32 s19, s19, 0
	v_or_b32_e32 v22, v25, v22
	s_or_b64 s[16:17], s[4:5], s[16:17]
	v_or_b32_e32 v21, v24, v21
	s_andn2_b64 exec, exec, s[16:17]
	s_cbranch_execnz .LBB1_49
; %bb.50:                               ;   in Loop: Header=BB1_30 Depth=1
	s_or_b64 exec, exec, s[16:17]
.LBB1_51:                               ;   in Loop: Header=BB1_30 Depth=1
	s_or_b64 exec, exec, s[14:15]
	v_mov_b32_e32 v16, v15
                                        ; implicit-def: $vgpr23
.LBB1_52:                               ;   in Loop: Header=BB1_30 Depth=1
	s_or_saveexec_b64 s[4:5], s[6:7]
	v_mov_b32_e32 v25, 0
	s_xor_b64 exec, exec, s[4:5]
	s_cbranch_execz .LBB1_54
; %bb.53:                               ;   in Loop: Header=BB1_30 Depth=1
	buffer_load_dword v21, v15, s[0:3], 0 offen
	buffer_load_dword v22, v15, s[0:3], 0 offen offset:4
	v_add_u32_e32 v25, -8, v23
.LBB1_54:                               ;   in Loop: Header=BB1_30 Depth=1
	s_or_b64 exec, exec, s[4:5]
	v_cmp_gt_u32_e64 s[4:5], 8, v25
	v_add_u32_e32 v15, 8, v16
                                        ; implicit-def: $vgpr23_vgpr24
	s_and_saveexec_b64 s[6:7], s[4:5]
	s_xor_b64 s[6:7], exec, s[6:7]
	s_cbranch_execz .LBB1_60
; %bb.55:                               ;   in Loop: Header=BB1_30 Depth=1
	v_mov_b32_e32 v23, 0
	v_mov_b32_e32 v24, 0
	v_cmp_ne_u32_e64 s[4:5], 0, v25
	s_and_saveexec_b64 s[14:15], s[4:5]
	s_cbranch_execz .LBB1_59
; %bb.56:                               ;   in Loop: Header=BB1_30 Depth=1
	v_mov_b32_e32 v23, 0
	s_mov_b32 s22, 0
	s_mov_b64 s[16:17], 0
	v_mov_b32_e32 v24, 0
	s_mov_b64 s[18:19], 0
.LBB1_57:                               ;   Parent Loop BB1_30 Depth=1
                                        ; =>  This Inner Loop Header: Depth=2
	v_add_u32_e32 v15, s22, v16
	buffer_load_ubyte v15, v15, s[0:3], 0 offen
	v_mov_b32_e32 v27, s20
	s_add_i32 s22, s22, 1
	v_cmp_eq_u32_e64 s[4:5], s22, v25
	s_waitcnt vmcnt(0)
	v_and_b32_e32 v26, 0xffff, v15
	v_lshlrev_b64 v[26:27], s18, v[26:27]
	s_add_u32 s18, s18, 8
	s_addc_u32 s19, s19, 0
	v_or_b32_e32 v24, v27, v24
	s_or_b64 s[16:17], s[4:5], s[16:17]
	v_or_b32_e32 v23, v26, v23
	s_andn2_b64 exec, exec, s[16:17]
	s_cbranch_execnz .LBB1_57
; %bb.58:                               ;   in Loop: Header=BB1_30 Depth=1
	s_or_b64 exec, exec, s[16:17]
.LBB1_59:                               ;   in Loop: Header=BB1_30 Depth=1
	s_or_b64 exec, exec, s[14:15]
	v_mov_b32_e32 v15, v16
                                        ; implicit-def: $vgpr25
.LBB1_60:                               ;   in Loop: Header=BB1_30 Depth=1
	s_or_saveexec_b64 s[4:5], s[6:7]
	v_mov_b32_e32 v27, 0
	s_xor_b64 exec, exec, s[4:5]
	s_cbranch_execz .LBB1_62
; %bb.61:                               ;   in Loop: Header=BB1_30 Depth=1
	buffer_load_dword v23, v16, s[0:3], 0 offen
	buffer_load_dword v24, v16, s[0:3], 0 offen offset:4
	v_add_u32_e32 v27, -8, v25
.LBB1_62:                               ;   in Loop: Header=BB1_30 Depth=1
	s_or_b64 exec, exec, s[4:5]
	v_cmp_gt_u32_e64 s[4:5], 8, v27
	v_add_u32_e32 v16, 8, v15
	s_and_saveexec_b64 s[6:7], s[4:5]
	s_xor_b64 s[6:7], exec, s[6:7]
	s_cbranch_execz .LBB1_68
; %bb.63:                               ;   in Loop: Header=BB1_30 Depth=1
	v_mov_b32_e32 v25, 0
	v_mov_b32_e32 v26, 0
	v_cmp_ne_u32_e64 s[4:5], 0, v27
	s_and_saveexec_b64 s[14:15], s[4:5]
	s_cbranch_execz .LBB1_67
; %bb.64:                               ;   in Loop: Header=BB1_30 Depth=1
	v_mov_b32_e32 v25, 0
	s_mov_b32 s22, 0
	s_mov_b64 s[16:17], 0
	v_mov_b32_e32 v26, 0
	s_mov_b64 s[18:19], 0
.LBB1_65:                               ;   Parent Loop BB1_30 Depth=1
                                        ; =>  This Inner Loop Header: Depth=2
	v_add_u32_e32 v16, s22, v15
	buffer_load_ubyte v16, v16, s[0:3], 0 offen
	v_mov_b32_e32 v29, s20
	s_add_i32 s22, s22, 1
	v_cmp_eq_u32_e64 s[4:5], s22, v27
	s_waitcnt vmcnt(0)
	v_and_b32_e32 v28, 0xffff, v16
	v_lshlrev_b64 v[28:29], s18, v[28:29]
	s_add_u32 s18, s18, 8
	s_addc_u32 s19, s19, 0
	v_or_b32_e32 v26, v29, v26
	s_or_b64 s[16:17], s[4:5], s[16:17]
	v_or_b32_e32 v25, v28, v25
	s_andn2_b64 exec, exec, s[16:17]
	s_cbranch_execnz .LBB1_65
; %bb.66:                               ;   in Loop: Header=BB1_30 Depth=1
	s_or_b64 exec, exec, s[16:17]
.LBB1_67:                               ;   in Loop: Header=BB1_30 Depth=1
	s_or_b64 exec, exec, s[14:15]
	v_mov_b32_e32 v16, v15
                                        ; implicit-def: $vgpr27
.LBB1_68:                               ;   in Loop: Header=BB1_30 Depth=1
	s_or_saveexec_b64 s[4:5], s[6:7]
	v_mov_b32_e32 v29, 0
	s_xor_b64 exec, exec, s[4:5]
	s_cbranch_execz .LBB1_70
; %bb.69:                               ;   in Loop: Header=BB1_30 Depth=1
	buffer_load_dword v25, v15, s[0:3], 0 offen
	buffer_load_dword v26, v15, s[0:3], 0 offen offset:4
	v_add_u32_e32 v29, -8, v27
.LBB1_70:                               ;   in Loop: Header=BB1_30 Depth=1
	s_or_b64 exec, exec, s[4:5]
	v_cmp_gt_u32_e64 s[4:5], 8, v29
	v_add_u32_e32 v15, 8, v16
                                        ; implicit-def: $vgpr27_vgpr28
	s_and_saveexec_b64 s[6:7], s[4:5]
	s_xor_b64 s[6:7], exec, s[6:7]
	s_cbranch_execz .LBB1_76
; %bb.71:                               ;   in Loop: Header=BB1_30 Depth=1
	v_mov_b32_e32 v27, 0
	v_mov_b32_e32 v28, 0
	v_cmp_ne_u32_e64 s[4:5], 0, v29
	s_and_saveexec_b64 s[14:15], s[4:5]
	s_cbranch_execz .LBB1_75
; %bb.72:                               ;   in Loop: Header=BB1_30 Depth=1
	v_mov_b32_e32 v27, 0
	s_mov_b32 s22, 0
	s_mov_b64 s[16:17], 0
	v_mov_b32_e32 v28, 0
	s_mov_b64 s[18:19], 0
.LBB1_73:                               ;   Parent Loop BB1_30 Depth=1
                                        ; =>  This Inner Loop Header: Depth=2
	v_add_u32_e32 v15, s22, v16
	buffer_load_ubyte v15, v15, s[0:3], 0 offen
	v_mov_b32_e32 v31, s20
	s_add_i32 s22, s22, 1
	v_cmp_eq_u32_e64 s[4:5], s22, v29
	s_waitcnt vmcnt(0)
	v_and_b32_e32 v30, 0xffff, v15
	v_lshlrev_b64 v[30:31], s18, v[30:31]
	s_add_u32 s18, s18, 8
	s_addc_u32 s19, s19, 0
	v_or_b32_e32 v28, v31, v28
	s_or_b64 s[16:17], s[4:5], s[16:17]
	v_or_b32_e32 v27, v30, v27
	s_andn2_b64 exec, exec, s[16:17]
	s_cbranch_execnz .LBB1_73
; %bb.74:                               ;   in Loop: Header=BB1_30 Depth=1
	s_or_b64 exec, exec, s[16:17]
.LBB1_75:                               ;   in Loop: Header=BB1_30 Depth=1
	s_or_b64 exec, exec, s[14:15]
	v_mov_b32_e32 v15, v16
                                        ; implicit-def: $vgpr29
.LBB1_76:                               ;   in Loop: Header=BB1_30 Depth=1
	s_or_saveexec_b64 s[4:5], s[6:7]
	v_mov_b32_e32 v31, 0
	s_xor_b64 exec, exec, s[4:5]
	s_cbranch_execz .LBB1_78
; %bb.77:                               ;   in Loop: Header=BB1_30 Depth=1
	buffer_load_dword v27, v16, s[0:3], 0 offen
	buffer_load_dword v28, v16, s[0:3], 0 offen offset:4
	v_add_u32_e32 v31, -8, v29
.LBB1_78:                               ;   in Loop: Header=BB1_30 Depth=1
	s_or_b64 exec, exec, s[4:5]
	v_cmp_gt_u32_e64 s[4:5], 8, v31
	s_and_saveexec_b64 s[6:7], s[4:5]
	s_xor_b64 s[6:7], exec, s[6:7]
	s_cbranch_execz .LBB1_84
; %bb.79:                               ;   in Loop: Header=BB1_30 Depth=1
	v_mov_b32_e32 v29, 0
	v_mov_b32_e32 v30, 0
	v_cmp_ne_u32_e64 s[4:5], 0, v31
	s_and_saveexec_b64 s[14:15], s[4:5]
	s_cbranch_execz .LBB1_83
; %bb.80:                               ;   in Loop: Header=BB1_30 Depth=1
	v_mov_b32_e32 v29, 0
	s_mov_b64 s[16:17], 0
	v_mov_b32_e32 v30, 0
	s_mov_b64 s[18:19], 0
.LBB1_81:                               ;   Parent Loop BB1_30 Depth=1
                                        ; =>  This Inner Loop Header: Depth=2
	buffer_load_ubyte v16, v15, s[0:3], 0 offen
	v_mov_b32_e32 v33, s20
	v_add_u32_e32 v31, -1, v31
	v_cmp_eq_u32_e64 s[4:5], 0, v31
	v_add_u32_e32 v15, 1, v15
	s_waitcnt vmcnt(0)
	v_and_b32_e32 v32, 0xffff, v16
	v_lshlrev_b64 v[32:33], s18, v[32:33]
	s_add_u32 s18, s18, 8
	s_addc_u32 s19, s19, 0
	v_or_b32_e32 v30, v33, v30
	s_or_b64 s[16:17], s[4:5], s[16:17]
	v_or_b32_e32 v29, v32, v29
	s_andn2_b64 exec, exec, s[16:17]
	s_cbranch_execnz .LBB1_81
; %bb.82:                               ;   in Loop: Header=BB1_30 Depth=1
	s_or_b64 exec, exec, s[16:17]
.LBB1_83:                               ;   in Loop: Header=BB1_30 Depth=1
	s_or_b64 exec, exec, s[14:15]
                                        ; implicit-def: $vgpr15
.LBB1_84:                               ;   in Loop: Header=BB1_30 Depth=1
	s_andn2_saveexec_b64 s[4:5], s[6:7]
	s_cbranch_execz .LBB1_86
; %bb.85:                               ;   in Loop: Header=BB1_30 Depth=1
	buffer_load_dword v29, v15, s[0:3], 0 offen
	buffer_load_dword v30, v15, s[0:3], 0 offen offset:4
.LBB1_86:                               ;   in Loop: Header=BB1_30 Depth=1
	s_or_b64 exec, exec, s[4:5]
	v_readfirstlane_b32 s4, v38
	v_mov_b32_e32 v15, 0
	v_mov_b32_e32 v16, 0
	v_cmp_eq_u32_e64 s[4:5], s4, v38
	s_and_saveexec_b64 s[14:15], s[4:5]
	s_cbranch_execz .LBB1_92
; %bb.87:                               ;   in Loop: Header=BB1_30 Depth=1
	global_load_dwordx2 v[33:34], v35, s[10:11] offset:24 glc
	s_waitcnt vmcnt(0)
	buffer_wbinvl1_vol
	global_load_dwordx2 v[15:16], v35, s[10:11] offset:40
	global_load_dwordx2 v[31:32], v35, s[10:11]
	s_waitcnt vmcnt(1)
	v_and_b32_e32 v15, v15, v33
	v_and_b32_e32 v16, v16, v34
	v_mul_lo_u32 v16, v16, 24
	v_mul_hi_u32 v36, v15, 24
	v_mul_lo_u32 v15, v15, 24
	v_add_u32_e32 v16, v36, v16
	s_waitcnt vmcnt(0)
	v_add_co_u32_e64 v15, s[6:7], v31, v15
	v_addc_co_u32_e64 v16, s[6:7], v32, v16, s[6:7]
	global_load_dwordx2 v[31:32], v[15:16], off glc
	s_waitcnt vmcnt(0)
	global_atomic_cmpswap_x2 v[15:16], v35, v[31:34], s[10:11] offset:24 glc
	s_waitcnt vmcnt(0)
	buffer_wbinvl1_vol
	v_cmp_ne_u64_e64 s[6:7], v[15:16], v[33:34]
	s_and_saveexec_b64 s[16:17], s[6:7]
	s_cbranch_execz .LBB1_91
; %bb.88:                               ;   in Loop: Header=BB1_30 Depth=1
	s_mov_b64 s[18:19], 0
.LBB1_89:                               ;   Parent Loop BB1_30 Depth=1
                                        ; =>  This Inner Loop Header: Depth=2
	s_sleep 1
	global_load_dwordx2 v[31:32], v35, s[10:11] offset:40
	global_load_dwordx2 v[36:37], v35, s[10:11]
	v_mov_b32_e32 v34, v16
	v_mov_b32_e32 v33, v15
	s_waitcnt vmcnt(1)
	v_and_b32_e32 v15, v31, v33
	s_waitcnt vmcnt(0)
	v_mad_u64_u32 v[15:16], s[6:7], v15, 24, v[36:37]
	v_and_b32_e32 v31, v32, v34
	v_mad_u64_u32 v[31:32], s[6:7], v31, 24, v[16:17]
	v_mov_b32_e32 v16, v31
	global_load_dwordx2 v[31:32], v[15:16], off glc
	s_waitcnt vmcnt(0)
	global_atomic_cmpswap_x2 v[15:16], v35, v[31:34], s[10:11] offset:24 glc
	s_waitcnt vmcnt(0)
	buffer_wbinvl1_vol
	v_cmp_eq_u64_e64 s[6:7], v[15:16], v[33:34]
	s_or_b64 s[18:19], s[6:7], s[18:19]
	s_andn2_b64 exec, exec, s[18:19]
	s_cbranch_execnz .LBB1_89
; %bb.90:                               ;   in Loop: Header=BB1_30 Depth=1
	s_or_b64 exec, exec, s[18:19]
.LBB1_91:                               ;   in Loop: Header=BB1_30 Depth=1
	s_or_b64 exec, exec, s[16:17]
.LBB1_92:                               ;   in Loop: Header=BB1_30 Depth=1
	s_or_b64 exec, exec, s[14:15]
	global_load_dwordx2 v[36:37], v35, s[10:11] offset:40
	global_load_dwordx4 v[31:34], v35, s[10:11]
	v_readfirstlane_b32 s15, v16
	v_readfirstlane_b32 s14, v15
	s_mov_b64 s[16:17], exec
	s_waitcnt vmcnt(1)
	v_readfirstlane_b32 s6, v36
	v_readfirstlane_b32 s7, v37
	s_and_b64 s[18:19], s[6:7], s[14:15]
	s_mul_i32 s6, s19, 24
	s_mul_hi_u32 s7, s18, 24
	s_mul_i32 s22, s18, 24
	s_add_i32 s6, s7, s6
	v_mov_b32_e32 v15, s6
	s_waitcnt vmcnt(0)
	v_add_co_u32_e64 v36, s[6:7], s22, v31
	v_addc_co_u32_e64 v37, s[6:7], v32, v15, s[6:7]
	s_and_saveexec_b64 s[6:7], s[4:5]
	s_cbranch_execz .LBB1_94
; %bb.93:                               ;   in Loop: Header=BB1_30 Depth=1
	v_mov_b32_e32 v15, s16
	v_mov_b32_e32 v16, s17
	global_store_dwordx4 v[36:37], v[15:18], off offset:8
.LBB1_94:                               ;   in Loop: Header=BB1_30 Depth=1
	s_or_b64 exec, exec, s[6:7]
	s_lshl_b64 s[6:7], s[18:19], 12
	v_cndmask_b32_e32 v51, 0, v1, vcc
	v_mov_b32_e32 v15, s7
	v_add_co_u32_e32 v33, vcc, s6, v33
	v_addc_co_u32_e32 v52, vcc, v34, v15, vcc
	v_cmp_gt_u64_e32 vcc, 57, v[0:1]
	v_and_b32_e32 v9, 0xffffff1f, v9
	v_cndmask_b32_e32 v15, 0, v48, vcc
	v_lshl_add_u32 v16, v50, 2, 28
	v_or_b32_e32 v9, v9, v15
	v_and_or_b32 v9, v16, s21, v9
	v_readfirstlane_b32 s6, v33
	v_readfirstlane_b32 s7, v52
	s_nop 4
	global_store_dwordx4 v39, v[9:12], s[6:7]
	global_store_dwordx4 v39, v[19:22], s[6:7] offset:16
	global_store_dwordx4 v39, v[23:26], s[6:7] offset:32
	;; [unrolled: 1-line block ×3, first 2 shown]
	s_and_saveexec_b64 s[6:7], s[4:5]
	s_cbranch_execz .LBB1_102
; %bb.95:                               ;   in Loop: Header=BB1_30 Depth=1
	global_load_dwordx2 v[21:22], v35, s[10:11] offset:32 glc
	global_load_dwordx2 v[9:10], v35, s[10:11] offset:40
	v_mov_b32_e32 v19, s14
	v_mov_b32_e32 v20, s15
	s_waitcnt vmcnt(0)
	v_readfirstlane_b32 s16, v9
	v_readfirstlane_b32 s17, v10
	s_and_b64 s[16:17], s[16:17], s[14:15]
	s_mul_i32 s17, s17, 24
	s_mul_hi_u32 s18, s16, 24
	s_mul_i32 s16, s16, 24
	s_add_i32 s17, s18, s17
	v_mov_b32_e32 v9, s17
	v_add_co_u32_e32 v15, vcc, s16, v31
	v_addc_co_u32_e32 v16, vcc, v32, v9, vcc
	global_store_dwordx2 v[15:16], v[21:22], off
	s_waitcnt vmcnt(0)
	global_atomic_cmpswap_x2 v[11:12], v35, v[19:22], s[10:11] offset:32 glc
	s_waitcnt vmcnt(0)
	v_cmp_ne_u64_e32 vcc, v[11:12], v[21:22]
	s_and_saveexec_b64 s[16:17], vcc
	s_cbranch_execz .LBB1_98
; %bb.96:                               ;   in Loop: Header=BB1_30 Depth=1
	s_mov_b64 s[18:19], 0
.LBB1_97:                               ;   Parent Loop BB1_30 Depth=1
                                        ; =>  This Inner Loop Header: Depth=2
	s_sleep 1
	global_store_dwordx2 v[15:16], v[11:12], off
	v_mov_b32_e32 v9, s14
	v_mov_b32_e32 v10, s15
	s_waitcnt vmcnt(0)
	global_atomic_cmpswap_x2 v[9:10], v35, v[9:12], s[10:11] offset:32 glc
	s_waitcnt vmcnt(0)
	v_cmp_eq_u64_e32 vcc, v[9:10], v[11:12]
	v_mov_b32_e32 v12, v10
	s_or_b64 s[18:19], vcc, s[18:19]
	v_mov_b32_e32 v11, v9
	s_andn2_b64 exec, exec, s[18:19]
	s_cbranch_execnz .LBB1_97
.LBB1_98:                               ;   in Loop: Header=BB1_30 Depth=1
	s_or_b64 exec, exec, s[16:17]
	global_load_dwordx2 v[9:10], v35, s[10:11] offset:16
	s_mov_b64 s[18:19], exec
	v_mbcnt_lo_u32_b32 v11, s18, 0
	v_mbcnt_hi_u32_b32 v11, s19, v11
	v_cmp_eq_u32_e32 vcc, 0, v11
	s_and_saveexec_b64 s[16:17], vcc
	s_cbranch_execz .LBB1_100
; %bb.99:                               ;   in Loop: Header=BB1_30 Depth=1
	s_bcnt1_i32_b64 s18, s[18:19]
	v_mov_b32_e32 v34, s18
	s_waitcnt vmcnt(0)
	global_atomic_add_x2 v[9:10], v[34:35], off offset:8
.LBB1_100:                              ;   in Loop: Header=BB1_30 Depth=1
	s_or_b64 exec, exec, s[16:17]
	s_waitcnt vmcnt(0)
	global_load_dwordx2 v[11:12], v[9:10], off offset:16
	s_waitcnt vmcnt(0)
	v_cmp_eq_u64_e32 vcc, 0, v[11:12]
	s_cbranch_vccnz .LBB1_102
; %bb.101:                              ;   in Loop: Header=BB1_30 Depth=1
	global_load_dword v34, v[9:10], off offset:24
	s_waitcnt vmcnt(0)
	v_readfirstlane_b32 s16, v34
	s_and_b32 m0, s16, 0xffffff
	global_store_dwordx2 v[11:12], v[34:35], off
	s_sendmsg sendmsg(MSG_INTERRUPT)
.LBB1_102:                              ;   in Loop: Header=BB1_30 Depth=1
	s_or_b64 exec, exec, s[6:7]
	v_add_co_u32_e32 v9, vcc, v33, v39
	v_addc_co_u32_e32 v10, vcc, 0, v52, vcc
	s_branch .LBB1_106
.LBB1_103:                              ;   in Loop: Header=BB1_106 Depth=2
	s_or_b64 exec, exec, s[6:7]
	v_readfirstlane_b32 s6, v11
	s_cmp_eq_u32 s6, 0
	s_cbranch_scc1 .LBB1_105
; %bb.104:                              ;   in Loop: Header=BB1_106 Depth=2
	s_sleep 1
	s_cbranch_execnz .LBB1_106
	s_branch .LBB1_108
.LBB1_105:                              ;   in Loop: Header=BB1_30 Depth=1
	s_branch .LBB1_108
.LBB1_106:                              ;   Parent Loop BB1_30 Depth=1
                                        ; =>  This Inner Loop Header: Depth=2
	v_mov_b32_e32 v11, 1
	s_and_saveexec_b64 s[6:7], s[4:5]
	s_cbranch_execz .LBB1_103
; %bb.107:                              ;   in Loop: Header=BB1_106 Depth=2
	global_load_dword v11, v[36:37], off offset:20 glc
	s_waitcnt vmcnt(0)
	buffer_wbinvl1_vol
	v_and_b32_e32 v11, 1, v11
	s_branch .LBB1_103
.LBB1_108:                              ;   in Loop: Header=BB1_30 Depth=1
	global_load_dwordx2 v[9:10], v[9:10], off
	s_and_saveexec_b64 s[6:7], s[4:5]
	s_cbranch_execz .LBB1_29
; %bb.109:                              ;   in Loop: Header=BB1_30 Depth=1
	global_load_dwordx2 v[11:12], v35, s[10:11] offset:40
	global_load_dwordx2 v[23:24], v35, s[10:11] offset:24 glc
	global_load_dwordx2 v[15:16], v35, s[10:11]
	s_waitcnt vmcnt(2)
	v_readfirstlane_b32 s16, v11
	v_readfirstlane_b32 s17, v12
	s_add_u32 s18, s16, 1
	s_addc_u32 s19, s17, 0
	s_add_u32 s4, s18, s14
	s_addc_u32 s5, s19, s15
	s_cmp_eq_u64 s[4:5], 0
	s_cselect_b32 s5, s19, s5
	s_cselect_b32 s4, s18, s4
	s_and_b64 s[14:15], s[4:5], s[16:17]
	s_mul_i32 s15, s15, 24
	s_mul_hi_u32 s16, s14, 24
	s_mul_i32 s14, s14, 24
	s_add_i32 s15, s16, s15
	v_mov_b32_e32 v12, s15
	s_waitcnt vmcnt(0)
	v_add_co_u32_e32 v11, vcc, s14, v15
	v_addc_co_u32_e32 v12, vcc, v16, v12, vcc
	v_mov_b32_e32 v21, s4
	global_store_dwordx2 v[11:12], v[23:24], off
	v_mov_b32_e32 v22, s5
	s_waitcnt vmcnt(0)
	global_atomic_cmpswap_x2 v[21:22], v35, v[21:24], s[10:11] offset:24 glc
	s_waitcnt vmcnt(0)
	v_cmp_ne_u64_e32 vcc, v[21:22], v[23:24]
	s_and_b64 exec, exec, vcc
	s_cbranch_execz .LBB1_29
; %bb.110:                              ;   in Loop: Header=BB1_30 Depth=1
	s_mov_b64 s[14:15], 0
.LBB1_111:                              ;   Parent Loop BB1_30 Depth=1
                                        ; =>  This Inner Loop Header: Depth=2
	s_sleep 1
	global_store_dwordx2 v[11:12], v[21:22], off
	v_mov_b32_e32 v19, s4
	v_mov_b32_e32 v20, s5
	s_waitcnt vmcnt(0)
	global_atomic_cmpswap_x2 v[15:16], v35, v[19:22], s[10:11] offset:24 glc
	s_waitcnt vmcnt(0)
	v_cmp_eq_u64_e32 vcc, v[15:16], v[21:22]
	v_mov_b32_e32 v22, v16
	s_or_b64 s[14:15], vcc, s[14:15]
	v_mov_b32_e32 v21, v15
	s_andn2_b64 exec, exec, s[14:15]
	s_cbranch_execnz .LBB1_111
	s_branch .LBB1_29
.LBB1_112:
                                        ; implicit-def: $vgpr9_vgpr10
	s_cbranch_execnz .LBB1_114
	s_branch .LBB1_140
.LBB1_113:
	s_or_b64 exec, exec, s[12:13]
	s_branch .LBB1_140
.LBB1_114:
	v_readfirstlane_b32 s4, v38
	v_mov_b32_e32 v0, 0
	v_mov_b32_e32 v1, 0
	v_cmp_eq_u32_e64 s[4:5], s4, v38
	s_and_saveexec_b64 s[6:7], s[4:5]
	s_cbranch_execz .LBB1_120
; %bb.115:
	s_waitcnt vmcnt(0)
	v_mov_b32_e32 v9, 0
	global_load_dwordx2 v[17:18], v9, s[10:11] offset:24 glc
	s_waitcnt vmcnt(0)
	buffer_wbinvl1_vol
	global_load_dwordx2 v[0:1], v9, s[10:11] offset:40
	global_load_dwordx2 v[10:11], v9, s[10:11]
	s_waitcnt vmcnt(1)
	v_and_b32_e32 v0, v0, v17
	v_and_b32_e32 v1, v1, v18
	v_mul_lo_u32 v1, v1, 24
	v_mul_hi_u32 v12, v0, 24
	v_mul_lo_u32 v0, v0, 24
	v_add_u32_e32 v1, v12, v1
	s_waitcnt vmcnt(0)
	v_add_co_u32_e32 v0, vcc, v10, v0
	v_addc_co_u32_e32 v1, vcc, v11, v1, vcc
	global_load_dwordx2 v[15:16], v[0:1], off glc
	s_waitcnt vmcnt(0)
	global_atomic_cmpswap_x2 v[0:1], v9, v[15:18], s[10:11] offset:24 glc
	s_waitcnt vmcnt(0)
	buffer_wbinvl1_vol
	v_cmp_ne_u64_e32 vcc, v[0:1], v[17:18]
	s_and_saveexec_b64 s[12:13], vcc
	s_cbranch_execz .LBB1_119
; %bb.116:
	s_mov_b64 s[14:15], 0
.LBB1_117:                              ; =>This Inner Loop Header: Depth=1
	s_sleep 1
	global_load_dwordx2 v[10:11], v9, s[10:11] offset:40
	global_load_dwordx2 v[15:16], v9, s[10:11]
	v_mov_b32_e32 v18, v1
	v_mov_b32_e32 v17, v0
	s_waitcnt vmcnt(1)
	v_and_b32_e32 v0, v10, v17
	s_waitcnt vmcnt(0)
	v_mad_u64_u32 v[0:1], s[16:17], v0, 24, v[15:16]
	v_and_b32_e32 v10, v11, v18
	v_mad_u64_u32 v[10:11], s[16:17], v10, 24, v[1:2]
	v_mov_b32_e32 v1, v10
	global_load_dwordx2 v[15:16], v[0:1], off glc
	s_waitcnt vmcnt(0)
	global_atomic_cmpswap_x2 v[0:1], v9, v[15:18], s[10:11] offset:24 glc
	s_waitcnt vmcnt(0)
	buffer_wbinvl1_vol
	v_cmp_eq_u64_e32 vcc, v[0:1], v[17:18]
	s_or_b64 s[14:15], vcc, s[14:15]
	s_andn2_b64 exec, exec, s[14:15]
	s_cbranch_execnz .LBB1_117
; %bb.118:
	s_or_b64 exec, exec, s[14:15]
.LBB1_119:
	s_or_b64 exec, exec, s[12:13]
.LBB1_120:
	s_or_b64 exec, exec, s[6:7]
	v_mov_b32_e32 v15, 0
	global_load_dwordx2 v[16:17], v15, s[10:11] offset:40
	global_load_dwordx4 v[9:12], v15, s[10:11]
	v_readfirstlane_b32 s7, v1
	v_readfirstlane_b32 s6, v0
	s_mov_b64 s[12:13], exec
	s_waitcnt vmcnt(1)
	v_readfirstlane_b32 s14, v16
	v_readfirstlane_b32 s15, v17
	s_and_b64 s[14:15], s[14:15], s[6:7]
	s_mul_i32 s16, s15, 24
	s_mul_hi_u32 s17, s14, 24
	s_mul_i32 s18, s14, 24
	s_add_i32 s16, s17, s16
	v_mov_b32_e32 v1, s16
	s_waitcnt vmcnt(0)
	v_add_co_u32_e32 v0, vcc, s18, v9
	v_addc_co_u32_e32 v1, vcc, v10, v1, vcc
	s_and_saveexec_b64 s[16:17], s[4:5]
	s_cbranch_execz .LBB1_122
; %bb.121:
	v_mov_b32_e32 v17, s13
	v_mov_b32_e32 v16, s12
	v_mov_b32_e32 v18, 2
	v_mov_b32_e32 v19, 1
	global_store_dwordx4 v[0:1], v[16:19], off offset:8
.LBB1_122:
	s_or_b64 exec, exec, s[16:17]
	s_lshl_b64 s[12:13], s[14:15], 12
	v_mov_b32_e32 v16, s13
	v_add_co_u32_e32 v11, vcc, s12, v11
	v_addc_co_u32_e32 v12, vcc, v12, v16, vcc
	s_movk_i32 s12, 0xff1f
	v_and_or_b32 v13, v13, s12, 32
	v_add_co_u32_e32 v17, vcc, v11, v39
	s_mov_b32 s12, 0
	v_mov_b32_e32 v16, v15
	v_readfirstlane_b32 s16, v11
	v_readfirstlane_b32 s17, v12
	v_addc_co_u32_e32 v18, vcc, 0, v12, vcc
	s_mov_b32 s13, s12
	s_mov_b32 s14, s12
	;; [unrolled: 1-line block ×3, first 2 shown]
	s_nop 0
	global_store_dwordx4 v39, v[13:16], s[16:17]
	v_mov_b32_e32 v11, s12
	v_mov_b32_e32 v12, s13
	v_mov_b32_e32 v13, s14
	v_mov_b32_e32 v14, s15
	global_store_dwordx4 v39, v[11:14], s[16:17] offset:16
	global_store_dwordx4 v39, v[11:14], s[16:17] offset:32
	;; [unrolled: 1-line block ×3, first 2 shown]
	s_and_saveexec_b64 s[12:13], s[4:5]
	s_cbranch_execz .LBB1_130
; %bb.123:
	v_mov_b32_e32 v15, 0
	global_load_dwordx2 v[21:22], v15, s[10:11] offset:32 glc
	global_load_dwordx2 v[11:12], v15, s[10:11] offset:40
	v_mov_b32_e32 v19, s6
	v_mov_b32_e32 v20, s7
	s_waitcnt vmcnt(0)
	v_readfirstlane_b32 s14, v11
	v_readfirstlane_b32 s15, v12
	s_and_b64 s[14:15], s[14:15], s[6:7]
	s_mul_i32 s15, s15, 24
	s_mul_hi_u32 s16, s14, 24
	s_mul_i32 s14, s14, 24
	s_add_i32 s15, s16, s15
	v_mov_b32_e32 v11, s15
	v_add_co_u32_e32 v13, vcc, s14, v9
	v_addc_co_u32_e32 v14, vcc, v10, v11, vcc
	global_store_dwordx2 v[13:14], v[21:22], off
	s_waitcnt vmcnt(0)
	global_atomic_cmpswap_x2 v[11:12], v15, v[19:22], s[10:11] offset:32 glc
	s_waitcnt vmcnt(0)
	v_cmp_ne_u64_e32 vcc, v[11:12], v[21:22]
	s_and_saveexec_b64 s[14:15], vcc
	s_cbranch_execz .LBB1_126
; %bb.124:
	s_mov_b64 s[16:17], 0
.LBB1_125:                              ; =>This Inner Loop Header: Depth=1
	s_sleep 1
	global_store_dwordx2 v[13:14], v[11:12], off
	v_mov_b32_e32 v9, s6
	v_mov_b32_e32 v10, s7
	s_waitcnt vmcnt(0)
	global_atomic_cmpswap_x2 v[9:10], v15, v[9:12], s[10:11] offset:32 glc
	s_waitcnt vmcnt(0)
	v_cmp_eq_u64_e32 vcc, v[9:10], v[11:12]
	v_mov_b32_e32 v12, v10
	s_or_b64 s[16:17], vcc, s[16:17]
	v_mov_b32_e32 v11, v9
	s_andn2_b64 exec, exec, s[16:17]
	s_cbranch_execnz .LBB1_125
.LBB1_126:
	s_or_b64 exec, exec, s[14:15]
	v_mov_b32_e32 v12, 0
	global_load_dwordx2 v[9:10], v12, s[10:11] offset:16
	s_mov_b64 s[14:15], exec
	v_mbcnt_lo_u32_b32 v11, s14, 0
	v_mbcnt_hi_u32_b32 v11, s15, v11
	v_cmp_eq_u32_e32 vcc, 0, v11
	s_and_saveexec_b64 s[16:17], vcc
	s_cbranch_execz .LBB1_128
; %bb.127:
	s_bcnt1_i32_b64 s14, s[14:15]
	v_mov_b32_e32 v11, s14
	s_waitcnt vmcnt(0)
	global_atomic_add_x2 v[9:10], v[11:12], off offset:8
.LBB1_128:
	s_or_b64 exec, exec, s[16:17]
	s_waitcnt vmcnt(0)
	global_load_dwordx2 v[11:12], v[9:10], off offset:16
	s_waitcnt vmcnt(0)
	v_cmp_eq_u64_e32 vcc, 0, v[11:12]
	s_cbranch_vccnz .LBB1_130
; %bb.129:
	global_load_dword v9, v[9:10], off offset:24
	v_mov_b32_e32 v10, 0
	s_waitcnt vmcnt(0)
	v_readfirstlane_b32 s14, v9
	s_and_b32 m0, s14, 0xffffff
	global_store_dwordx2 v[11:12], v[9:10], off
	s_sendmsg sendmsg(MSG_INTERRUPT)
.LBB1_130:
	s_or_b64 exec, exec, s[12:13]
	s_branch .LBB1_134
.LBB1_131:                              ;   in Loop: Header=BB1_134 Depth=1
	s_or_b64 exec, exec, s[12:13]
	v_readfirstlane_b32 s12, v9
	s_cmp_eq_u32 s12, 0
	s_cbranch_scc1 .LBB1_133
; %bb.132:                              ;   in Loop: Header=BB1_134 Depth=1
	s_sleep 1
	s_cbranch_execnz .LBB1_134
	s_branch .LBB1_136
.LBB1_133:
	s_branch .LBB1_136
.LBB1_134:                              ; =>This Inner Loop Header: Depth=1
	v_mov_b32_e32 v9, 1
	s_and_saveexec_b64 s[12:13], s[4:5]
	s_cbranch_execz .LBB1_131
; %bb.135:                              ;   in Loop: Header=BB1_134 Depth=1
	global_load_dword v9, v[0:1], off offset:20 glc
	s_waitcnt vmcnt(0)
	buffer_wbinvl1_vol
	v_and_b32_e32 v9, 1, v9
	s_branch .LBB1_131
.LBB1_136:
	global_load_dwordx2 v[9:10], v[17:18], off
	s_and_saveexec_b64 s[12:13], s[4:5]
	s_cbranch_execz .LBB1_139
; %bb.137:
	v_mov_b32_e32 v15, 0
	global_load_dwordx2 v[0:1], v15, s[10:11] offset:40
	global_load_dwordx2 v[18:19], v15, s[10:11] offset:24 glc
	global_load_dwordx2 v[11:12], v15, s[10:11]
	s_waitcnt vmcnt(2)
	v_readfirstlane_b32 s14, v0
	v_readfirstlane_b32 s15, v1
	s_add_u32 s16, s14, 1
	s_addc_u32 s17, s15, 0
	s_add_u32 s4, s16, s6
	s_addc_u32 s5, s17, s7
	s_cmp_eq_u64 s[4:5], 0
	s_cselect_b32 s5, s17, s5
	s_cselect_b32 s4, s16, s4
	s_and_b64 s[6:7], s[4:5], s[14:15]
	s_mul_i32 s7, s7, 24
	s_mul_hi_u32 s14, s6, 24
	s_mul_i32 s6, s6, 24
	s_add_i32 s7, s14, s7
	v_mov_b32_e32 v1, s7
	s_waitcnt vmcnt(0)
	v_add_co_u32_e32 v0, vcc, s6, v11
	v_addc_co_u32_e32 v1, vcc, v12, v1, vcc
	v_mov_b32_e32 v16, s4
	global_store_dwordx2 v[0:1], v[18:19], off
	v_mov_b32_e32 v17, s5
	s_waitcnt vmcnt(0)
	global_atomic_cmpswap_x2 v[13:14], v15, v[16:19], s[10:11] offset:24 glc
	s_mov_b64 s[6:7], 0
	s_waitcnt vmcnt(0)
	v_cmp_ne_u64_e32 vcc, v[13:14], v[18:19]
	s_and_b64 exec, exec, vcc
	s_cbranch_execz .LBB1_139
.LBB1_138:                              ; =>This Inner Loop Header: Depth=1
	s_sleep 1
	global_store_dwordx2 v[0:1], v[13:14], off
	v_mov_b32_e32 v11, s4
	v_mov_b32_e32 v12, s5
	s_waitcnt vmcnt(0)
	global_atomic_cmpswap_x2 v[11:12], v15, v[11:14], s[10:11] offset:24 glc
	s_waitcnt vmcnt(0)
	v_cmp_eq_u64_e32 vcc, v[11:12], v[13:14]
	v_mov_b32_e32 v14, v12
	s_or_b64 s[6:7], vcc, s[6:7]
	v_mov_b32_e32 v13, v11
	s_andn2_b64 exec, exec, s[6:7]
	s_cbranch_execnz .LBB1_138
.LBB1_139:
	s_or_b64 exec, exec, s[12:13]
.LBB1_140:
	v_mov_b32_e32 v12, v3
	s_mov_b64 s[4:5], 0
	v_mov_b32_e32 v11, v2
.LBB1_141:                              ; =>This Inner Loop Header: Depth=1
	global_load_ubyte v13, v[11:12], off
	v_add_co_u32_e32 v0, vcc, 1, v11
	v_addc_co_u32_e32 v1, vcc, 0, v12, vcc
	v_mov_b32_e32 v12, v1
	v_mov_b32_e32 v11, v0
	s_waitcnt vmcnt(0)
	v_cmp_eq_u16_e32 vcc, 0, v13
	s_or_b64 s[4:5], vcc, s[4:5]
	s_andn2_b64 exec, exec, s[4:5]
	s_cbranch_execnz .LBB1_141
; %bb.142:
	s_or_b64 exec, exec, s[4:5]
	v_cmp_ne_u64_e32 vcc, 0, v[2:3]
	s_mov_b64 s[12:13], 0
	s_and_saveexec_b64 s[4:5], vcc
	s_xor_b64 s[6:7], exec, s[4:5]
	s_cbranch_execz .LBB1_228
; %bb.143:
	v_sub_u32_e32 v0, v0, v2
	v_ashrrev_i32_e32 v1, 31, v0
	v_and_b32_e32 v48, 2, v9
	v_mov_b32_e32 v33, 0
	v_and_b32_e32 v9, -3, v9
	s_mov_b32 s22, 0
	s_movk_i32 s23, 0x1e0
	v_mov_b32_e32 v15, 2
	v_mov_b32_e32 v16, 1
	s_branch .LBB1_145
.LBB1_144:                              ;   in Loop: Header=BB1_145 Depth=1
	s_or_b64 exec, exec, s[16:17]
	v_sub_co_u32_e32 v0, vcc, v0, v34
	v_subb_co_u32_e32 v1, vcc, v1, v35, vcc
	v_cmp_eq_u64_e32 vcc, 0, v[0:1]
	s_or_b64 s[12:13], vcc, s[12:13]
	v_add_co_u32_e32 v2, vcc, v2, v34
	v_addc_co_u32_e32 v3, vcc, v3, v35, vcc
	s_andn2_b64 exec, exec, s[12:13]
	s_cbranch_execz .LBB1_227
.LBB1_145:                              ; =>This Loop Header: Depth=1
                                        ;     Child Loop BB1_148 Depth 2
                                        ;     Child Loop BB1_156 Depth 2
	;; [unrolled: 1-line block ×11, first 2 shown]
	v_cmp_gt_u64_e32 vcc, 56, v[0:1]
	v_add_co_u32_e64 v19, s[4:5], 8, v2
	v_cndmask_b32_e32 v35, 0, v1, vcc
	v_cndmask_b32_e32 v34, 56, v0, vcc
	v_cmp_gt_u64_e32 vcc, 8, v[0:1]
	v_addc_co_u32_e64 v20, s[4:5], 0, v3, s[4:5]
	s_and_saveexec_b64 s[4:5], vcc
	s_xor_b64 s[4:5], exec, s[4:5]
	s_cbranch_execz .LBB1_151
; %bb.146:                              ;   in Loop: Header=BB1_145 Depth=1
	v_mov_b32_e32 v11, 0
	v_cmp_ne_u64_e32 vcc, 0, v[0:1]
	v_mov_b32_e32 v12, 0
	s_and_saveexec_b64 s[14:15], vcc
	s_cbranch_execz .LBB1_150
; %bb.147:                              ;   in Loop: Header=BB1_145 Depth=1
	v_lshlrev_b64 v[13:14], 3, v[34:35]
	v_mov_b32_e32 v11, 0
	v_mov_b32_e32 v18, v3
	s_mov_b64 s[16:17], 0
	v_mov_b32_e32 v12, 0
	v_mov_b32_e32 v17, v2
	s_mov_b64 s[18:19], 0
.LBB1_148:                              ;   Parent Loop BB1_145 Depth=1
                                        ; =>  This Inner Loop Header: Depth=2
	global_load_ubyte v14, v[17:18], off
	v_mov_b32_e32 v20, s22
	v_add_co_u32_e32 v17, vcc, 1, v17
	v_addc_co_u32_e32 v18, vcc, 0, v18, vcc
	s_waitcnt vmcnt(0)
	v_and_b32_e32 v19, 0xffff, v14
	v_lshlrev_b64 v[19:20], s18, v[19:20]
	s_add_u32 s18, s18, 8
	s_addc_u32 s19, s19, 0
	v_cmp_eq_u32_e32 vcc, s18, v13
	v_or_b32_e32 v12, v20, v12
	s_or_b64 s[16:17], vcc, s[16:17]
	v_or_b32_e32 v11, v19, v11
	s_andn2_b64 exec, exec, s[16:17]
	s_cbranch_execnz .LBB1_148
; %bb.149:                              ;   in Loop: Header=BB1_145 Depth=1
	s_or_b64 exec, exec, s[16:17]
.LBB1_150:                              ;   in Loop: Header=BB1_145 Depth=1
	s_or_b64 exec, exec, s[14:15]
	v_mov_b32_e32 v20, v3
	v_mov_b32_e32 v19, v2
.LBB1_151:                              ;   in Loop: Header=BB1_145 Depth=1
	s_or_saveexec_b64 s[4:5], s[4:5]
	v_mov_b32_e32 v21, 0
	s_xor_b64 exec, exec, s[4:5]
	s_cbranch_execz .LBB1_153
; %bb.152:                              ;   in Loop: Header=BB1_145 Depth=1
	global_load_dwordx2 v[11:12], v[2:3], off
	v_add_u32_e32 v21, -8, v34
.LBB1_153:                              ;   in Loop: Header=BB1_145 Depth=1
	s_or_b64 exec, exec, s[4:5]
	v_add_co_u32_e64 v13, s[4:5], 8, v19
	v_cmp_gt_u32_e32 vcc, 8, v21
	v_addc_co_u32_e64 v14, s[4:5], 0, v20, s[4:5]
                                        ; implicit-def: $vgpr17_vgpr18
	s_and_saveexec_b64 s[4:5], vcc
	s_xor_b64 s[4:5], exec, s[4:5]
	s_cbranch_execz .LBB1_159
; %bb.154:                              ;   in Loop: Header=BB1_145 Depth=1
	v_mov_b32_e32 v17, 0
	v_mov_b32_e32 v18, 0
	v_cmp_ne_u32_e32 vcc, 0, v21
	s_and_saveexec_b64 s[14:15], vcc
	s_cbranch_execz .LBB1_158
; %bb.155:                              ;   in Loop: Header=BB1_145 Depth=1
	v_mov_b32_e32 v17, 0
	s_mov_b64 s[16:17], 0
	v_mov_b32_e32 v18, 0
	s_mov_b64 s[18:19], 0
	s_mov_b64 s[20:21], 0
.LBB1_156:                              ;   Parent Loop BB1_145 Depth=1
                                        ; =>  This Inner Loop Header: Depth=2
	v_mov_b32_e32 v14, s21
	v_add_co_u32_e32 v13, vcc, s20, v19
	v_addc_co_u32_e32 v14, vcc, v20, v14, vcc
	global_load_ubyte v13, v[13:14], off
	s_add_u32 s20, s20, 1
	v_mov_b32_e32 v14, s22
	s_addc_u32 s21, s21, 0
	v_cmp_eq_u32_e32 vcc, s20, v21
	s_waitcnt vmcnt(0)
	v_and_b32_e32 v13, 0xffff, v13
	v_lshlrev_b64 v[13:14], s18, v[13:14]
	s_add_u32 s18, s18, 8
	s_addc_u32 s19, s19, 0
	v_or_b32_e32 v18, v14, v18
	s_or_b64 s[16:17], vcc, s[16:17]
	v_or_b32_e32 v17, v13, v17
	s_andn2_b64 exec, exec, s[16:17]
	s_cbranch_execnz .LBB1_156
; %bb.157:                              ;   in Loop: Header=BB1_145 Depth=1
	s_or_b64 exec, exec, s[16:17]
.LBB1_158:                              ;   in Loop: Header=BB1_145 Depth=1
	s_or_b64 exec, exec, s[14:15]
	v_mov_b32_e32 v13, v19
	v_mov_b32_e32 v14, v20
                                        ; implicit-def: $vgpr21
.LBB1_159:                              ;   in Loop: Header=BB1_145 Depth=1
	s_or_saveexec_b64 s[4:5], s[4:5]
	v_mov_b32_e32 v22, 0
	s_xor_b64 exec, exec, s[4:5]
	s_cbranch_execz .LBB1_161
; %bb.160:                              ;   in Loop: Header=BB1_145 Depth=1
	global_load_dwordx2 v[17:18], v[19:20], off
	v_add_u32_e32 v22, -8, v21
.LBB1_161:                              ;   in Loop: Header=BB1_145 Depth=1
	s_or_b64 exec, exec, s[4:5]
	v_add_co_u32_e64 v23, s[4:5], 8, v13
	v_cmp_gt_u32_e32 vcc, 8, v22
	v_addc_co_u32_e64 v24, s[4:5], 0, v14, s[4:5]
	s_and_saveexec_b64 s[4:5], vcc
	s_xor_b64 s[4:5], exec, s[4:5]
	s_cbranch_execz .LBB1_167
; %bb.162:                              ;   in Loop: Header=BB1_145 Depth=1
	v_mov_b32_e32 v19, 0
	v_mov_b32_e32 v20, 0
	v_cmp_ne_u32_e32 vcc, 0, v22
	s_and_saveexec_b64 s[14:15], vcc
	s_cbranch_execz .LBB1_166
; %bb.163:                              ;   in Loop: Header=BB1_145 Depth=1
	v_mov_b32_e32 v19, 0
	s_mov_b64 s[16:17], 0
	v_mov_b32_e32 v20, 0
	s_mov_b64 s[18:19], 0
	s_mov_b64 s[20:21], 0
.LBB1_164:                              ;   Parent Loop BB1_145 Depth=1
                                        ; =>  This Inner Loop Header: Depth=2
	v_mov_b32_e32 v21, s21
	v_add_co_u32_e32 v23, vcc, s20, v13
	v_addc_co_u32_e32 v24, vcc, v14, v21, vcc
	global_load_ubyte v21, v[23:24], off
	s_add_u32 s20, s20, 1
	v_mov_b32_e32 v24, s22
	s_addc_u32 s21, s21, 0
	v_cmp_eq_u32_e32 vcc, s20, v22
	s_waitcnt vmcnt(0)
	v_and_b32_e32 v23, 0xffff, v21
	v_lshlrev_b64 v[23:24], s18, v[23:24]
	s_add_u32 s18, s18, 8
	s_addc_u32 s19, s19, 0
	v_or_b32_e32 v20, v24, v20
	s_or_b64 s[16:17], vcc, s[16:17]
	v_or_b32_e32 v19, v23, v19
	s_andn2_b64 exec, exec, s[16:17]
	s_cbranch_execnz .LBB1_164
; %bb.165:                              ;   in Loop: Header=BB1_145 Depth=1
	s_or_b64 exec, exec, s[16:17]
.LBB1_166:                              ;   in Loop: Header=BB1_145 Depth=1
	s_or_b64 exec, exec, s[14:15]
	v_mov_b32_e32 v24, v14
	v_mov_b32_e32 v23, v13
                                        ; implicit-def: $vgpr22
.LBB1_167:                              ;   in Loop: Header=BB1_145 Depth=1
	s_or_saveexec_b64 s[4:5], s[4:5]
	v_mov_b32_e32 v25, 0
	s_xor_b64 exec, exec, s[4:5]
	s_cbranch_execz .LBB1_169
; %bb.168:                              ;   in Loop: Header=BB1_145 Depth=1
	global_load_dwordx2 v[19:20], v[13:14], off
	v_add_u32_e32 v25, -8, v22
.LBB1_169:                              ;   in Loop: Header=BB1_145 Depth=1
	s_or_b64 exec, exec, s[4:5]
	v_add_co_u32_e64 v13, s[4:5], 8, v23
	v_cmp_gt_u32_e32 vcc, 8, v25
	v_addc_co_u32_e64 v14, s[4:5], 0, v24, s[4:5]
                                        ; implicit-def: $vgpr21_vgpr22
	s_and_saveexec_b64 s[4:5], vcc
	s_xor_b64 s[4:5], exec, s[4:5]
	s_cbranch_execz .LBB1_175
; %bb.170:                              ;   in Loop: Header=BB1_145 Depth=1
	v_mov_b32_e32 v21, 0
	v_mov_b32_e32 v22, 0
	v_cmp_ne_u32_e32 vcc, 0, v25
	s_and_saveexec_b64 s[14:15], vcc
	s_cbranch_execz .LBB1_174
; %bb.171:                              ;   in Loop: Header=BB1_145 Depth=1
	v_mov_b32_e32 v21, 0
	s_mov_b64 s[16:17], 0
	v_mov_b32_e32 v22, 0
	s_mov_b64 s[18:19], 0
	s_mov_b64 s[20:21], 0
.LBB1_172:                              ;   Parent Loop BB1_145 Depth=1
                                        ; =>  This Inner Loop Header: Depth=2
	v_mov_b32_e32 v14, s21
	v_add_co_u32_e32 v13, vcc, s20, v23
	v_addc_co_u32_e32 v14, vcc, v24, v14, vcc
	global_load_ubyte v13, v[13:14], off
	s_add_u32 s20, s20, 1
	v_mov_b32_e32 v14, s22
	s_addc_u32 s21, s21, 0
	v_cmp_eq_u32_e32 vcc, s20, v25
	s_waitcnt vmcnt(0)
	v_and_b32_e32 v13, 0xffff, v13
	v_lshlrev_b64 v[13:14], s18, v[13:14]
	s_add_u32 s18, s18, 8
	s_addc_u32 s19, s19, 0
	v_or_b32_e32 v22, v14, v22
	s_or_b64 s[16:17], vcc, s[16:17]
	v_or_b32_e32 v21, v13, v21
	s_andn2_b64 exec, exec, s[16:17]
	s_cbranch_execnz .LBB1_172
; %bb.173:                              ;   in Loop: Header=BB1_145 Depth=1
	s_or_b64 exec, exec, s[16:17]
.LBB1_174:                              ;   in Loop: Header=BB1_145 Depth=1
	s_or_b64 exec, exec, s[14:15]
	v_mov_b32_e32 v13, v23
	v_mov_b32_e32 v14, v24
                                        ; implicit-def: $vgpr25
.LBB1_175:                              ;   in Loop: Header=BB1_145 Depth=1
	s_or_saveexec_b64 s[4:5], s[4:5]
	v_mov_b32_e32 v26, 0
	s_xor_b64 exec, exec, s[4:5]
	s_cbranch_execz .LBB1_177
; %bb.176:                              ;   in Loop: Header=BB1_145 Depth=1
	global_load_dwordx2 v[21:22], v[23:24], off
	v_add_u32_e32 v26, -8, v25
.LBB1_177:                              ;   in Loop: Header=BB1_145 Depth=1
	s_or_b64 exec, exec, s[4:5]
	v_add_co_u32_e64 v27, s[4:5], 8, v13
	v_cmp_gt_u32_e32 vcc, 8, v26
	v_addc_co_u32_e64 v28, s[4:5], 0, v14, s[4:5]
	s_and_saveexec_b64 s[4:5], vcc
	s_xor_b64 s[4:5], exec, s[4:5]
	s_cbranch_execz .LBB1_183
; %bb.178:                              ;   in Loop: Header=BB1_145 Depth=1
	v_mov_b32_e32 v23, 0
	v_mov_b32_e32 v24, 0
	v_cmp_ne_u32_e32 vcc, 0, v26
	s_and_saveexec_b64 s[14:15], vcc
	s_cbranch_execz .LBB1_182
; %bb.179:                              ;   in Loop: Header=BB1_145 Depth=1
	v_mov_b32_e32 v23, 0
	s_mov_b64 s[16:17], 0
	v_mov_b32_e32 v24, 0
	s_mov_b64 s[18:19], 0
	s_mov_b64 s[20:21], 0
.LBB1_180:                              ;   Parent Loop BB1_145 Depth=1
                                        ; =>  This Inner Loop Header: Depth=2
	v_mov_b32_e32 v25, s21
	v_add_co_u32_e32 v27, vcc, s20, v13
	v_addc_co_u32_e32 v28, vcc, v14, v25, vcc
	global_load_ubyte v25, v[27:28], off
	s_add_u32 s20, s20, 1
	v_mov_b32_e32 v28, s22
	s_addc_u32 s21, s21, 0
	v_cmp_eq_u32_e32 vcc, s20, v26
	s_waitcnt vmcnt(0)
	v_and_b32_e32 v27, 0xffff, v25
	v_lshlrev_b64 v[27:28], s18, v[27:28]
	s_add_u32 s18, s18, 8
	s_addc_u32 s19, s19, 0
	v_or_b32_e32 v24, v28, v24
	s_or_b64 s[16:17], vcc, s[16:17]
	v_or_b32_e32 v23, v27, v23
	s_andn2_b64 exec, exec, s[16:17]
	s_cbranch_execnz .LBB1_180
; %bb.181:                              ;   in Loop: Header=BB1_145 Depth=1
	s_or_b64 exec, exec, s[16:17]
.LBB1_182:                              ;   in Loop: Header=BB1_145 Depth=1
	s_or_b64 exec, exec, s[14:15]
	v_mov_b32_e32 v28, v14
	v_mov_b32_e32 v27, v13
                                        ; implicit-def: $vgpr26
.LBB1_183:                              ;   in Loop: Header=BB1_145 Depth=1
	s_or_saveexec_b64 s[4:5], s[4:5]
	v_mov_b32_e32 v29, 0
	s_xor_b64 exec, exec, s[4:5]
	s_cbranch_execz .LBB1_185
; %bb.184:                              ;   in Loop: Header=BB1_145 Depth=1
	global_load_dwordx2 v[23:24], v[13:14], off
	v_add_u32_e32 v29, -8, v26
.LBB1_185:                              ;   in Loop: Header=BB1_145 Depth=1
	s_or_b64 exec, exec, s[4:5]
	v_add_co_u32_e64 v13, s[4:5], 8, v27
	v_cmp_gt_u32_e32 vcc, 8, v29
	v_addc_co_u32_e64 v14, s[4:5], 0, v28, s[4:5]
                                        ; implicit-def: $vgpr25_vgpr26
	s_and_saveexec_b64 s[4:5], vcc
	s_xor_b64 s[4:5], exec, s[4:5]
	s_cbranch_execz .LBB1_191
; %bb.186:                              ;   in Loop: Header=BB1_145 Depth=1
	v_mov_b32_e32 v25, 0
	v_mov_b32_e32 v26, 0
	v_cmp_ne_u32_e32 vcc, 0, v29
	s_and_saveexec_b64 s[14:15], vcc
	s_cbranch_execz .LBB1_190
; %bb.187:                              ;   in Loop: Header=BB1_145 Depth=1
	v_mov_b32_e32 v25, 0
	s_mov_b64 s[16:17], 0
	v_mov_b32_e32 v26, 0
	s_mov_b64 s[18:19], 0
	s_mov_b64 s[20:21], 0
.LBB1_188:                              ;   Parent Loop BB1_145 Depth=1
                                        ; =>  This Inner Loop Header: Depth=2
	v_mov_b32_e32 v14, s21
	v_add_co_u32_e32 v13, vcc, s20, v27
	v_addc_co_u32_e32 v14, vcc, v28, v14, vcc
	global_load_ubyte v13, v[13:14], off
	s_add_u32 s20, s20, 1
	v_mov_b32_e32 v14, s22
	s_addc_u32 s21, s21, 0
	v_cmp_eq_u32_e32 vcc, s20, v29
	s_waitcnt vmcnt(0)
	v_and_b32_e32 v13, 0xffff, v13
	v_lshlrev_b64 v[13:14], s18, v[13:14]
	s_add_u32 s18, s18, 8
	s_addc_u32 s19, s19, 0
	v_or_b32_e32 v26, v14, v26
	s_or_b64 s[16:17], vcc, s[16:17]
	v_or_b32_e32 v25, v13, v25
	s_andn2_b64 exec, exec, s[16:17]
	s_cbranch_execnz .LBB1_188
; %bb.189:                              ;   in Loop: Header=BB1_145 Depth=1
	s_or_b64 exec, exec, s[16:17]
.LBB1_190:                              ;   in Loop: Header=BB1_145 Depth=1
	s_or_b64 exec, exec, s[14:15]
	v_mov_b32_e32 v13, v27
	v_mov_b32_e32 v14, v28
                                        ; implicit-def: $vgpr29
.LBB1_191:                              ;   in Loop: Header=BB1_145 Depth=1
	s_or_saveexec_b64 s[4:5], s[4:5]
	v_mov_b32_e32 v30, 0
	s_xor_b64 exec, exec, s[4:5]
	s_cbranch_execz .LBB1_193
; %bb.192:                              ;   in Loop: Header=BB1_145 Depth=1
	global_load_dwordx2 v[25:26], v[27:28], off
	v_add_u32_e32 v30, -8, v29
.LBB1_193:                              ;   in Loop: Header=BB1_145 Depth=1
	s_or_b64 exec, exec, s[4:5]
	v_cmp_gt_u32_e32 vcc, 8, v30
	s_and_saveexec_b64 s[4:5], vcc
	s_xor_b64 s[4:5], exec, s[4:5]
	s_cbranch_execz .LBB1_199
; %bb.194:                              ;   in Loop: Header=BB1_145 Depth=1
	v_mov_b32_e32 v27, 0
	v_mov_b32_e32 v28, 0
	v_cmp_ne_u32_e32 vcc, 0, v30
	s_and_saveexec_b64 s[14:15], vcc
	s_cbranch_execz .LBB1_198
; %bb.195:                              ;   in Loop: Header=BB1_145 Depth=1
	v_mov_b32_e32 v27, 0
	s_mov_b64 s[16:17], 0
	v_mov_b32_e32 v28, 0
	s_mov_b64 s[18:19], 0
.LBB1_196:                              ;   Parent Loop BB1_145 Depth=1
                                        ; =>  This Inner Loop Header: Depth=2
	global_load_ubyte v29, v[13:14], off
	v_mov_b32_e32 v32, s22
	v_add_co_u32_e32 v13, vcc, 1, v13
	v_add_u32_e32 v30, -1, v30
	v_addc_co_u32_e32 v14, vcc, 0, v14, vcc
	v_cmp_eq_u32_e32 vcc, 0, v30
	s_waitcnt vmcnt(0)
	v_and_b32_e32 v31, 0xffff, v29
	v_lshlrev_b64 v[31:32], s18, v[31:32]
	s_add_u32 s18, s18, 8
	s_addc_u32 s19, s19, 0
	v_or_b32_e32 v28, v32, v28
	s_or_b64 s[16:17], vcc, s[16:17]
	v_or_b32_e32 v27, v31, v27
	s_andn2_b64 exec, exec, s[16:17]
	s_cbranch_execnz .LBB1_196
; %bb.197:                              ;   in Loop: Header=BB1_145 Depth=1
	s_or_b64 exec, exec, s[16:17]
.LBB1_198:                              ;   in Loop: Header=BB1_145 Depth=1
	s_or_b64 exec, exec, s[14:15]
                                        ; implicit-def: $vgpr13_vgpr14
.LBB1_199:                              ;   in Loop: Header=BB1_145 Depth=1
	s_andn2_saveexec_b64 s[4:5], s[4:5]
	s_cbranch_execz .LBB1_201
; %bb.200:                              ;   in Loop: Header=BB1_145 Depth=1
	global_load_dwordx2 v[27:28], v[13:14], off
.LBB1_201:                              ;   in Loop: Header=BB1_145 Depth=1
	s_or_b64 exec, exec, s[4:5]
	v_readfirstlane_b32 s4, v38
	v_mov_b32_e32 v13, 0
	v_mov_b32_e32 v14, 0
	v_cmp_eq_u32_e64 s[4:5], s4, v38
	s_and_saveexec_b64 s[14:15], s[4:5]
	s_cbranch_execz .LBB1_207
; %bb.202:                              ;   in Loop: Header=BB1_145 Depth=1
	global_load_dwordx2 v[31:32], v33, s[10:11] offset:24 glc
	s_waitcnt vmcnt(0)
	buffer_wbinvl1_vol
	global_load_dwordx2 v[13:14], v33, s[10:11] offset:40
	global_load_dwordx2 v[29:30], v33, s[10:11]
	s_waitcnt vmcnt(1)
	v_and_b32_e32 v13, v13, v31
	v_and_b32_e32 v14, v14, v32
	v_mul_lo_u32 v14, v14, 24
	v_mul_hi_u32 v36, v13, 24
	v_mul_lo_u32 v13, v13, 24
	v_add_u32_e32 v14, v36, v14
	s_waitcnt vmcnt(0)
	v_add_co_u32_e32 v13, vcc, v29, v13
	v_addc_co_u32_e32 v14, vcc, v30, v14, vcc
	global_load_dwordx2 v[29:30], v[13:14], off glc
	s_waitcnt vmcnt(0)
	global_atomic_cmpswap_x2 v[13:14], v33, v[29:32], s[10:11] offset:24 glc
	s_waitcnt vmcnt(0)
	buffer_wbinvl1_vol
	v_cmp_ne_u64_e32 vcc, v[13:14], v[31:32]
	s_and_saveexec_b64 s[16:17], vcc
	s_cbranch_execz .LBB1_206
; %bb.203:                              ;   in Loop: Header=BB1_145 Depth=1
	s_mov_b64 s[18:19], 0
.LBB1_204:                              ;   Parent Loop BB1_145 Depth=1
                                        ; =>  This Inner Loop Header: Depth=2
	s_sleep 1
	global_load_dwordx2 v[29:30], v33, s[10:11] offset:40
	global_load_dwordx2 v[36:37], v33, s[10:11]
	v_mov_b32_e32 v32, v14
	v_mov_b32_e32 v31, v13
	s_waitcnt vmcnt(1)
	v_and_b32_e32 v13, v29, v31
	s_waitcnt vmcnt(0)
	v_mad_u64_u32 v[13:14], s[20:21], v13, 24, v[36:37]
	v_and_b32_e32 v29, v30, v32
	v_mad_u64_u32 v[29:30], s[20:21], v29, 24, v[14:15]
	v_mov_b32_e32 v14, v29
	global_load_dwordx2 v[29:30], v[13:14], off glc
	s_waitcnt vmcnt(0)
	global_atomic_cmpswap_x2 v[13:14], v33, v[29:32], s[10:11] offset:24 glc
	s_waitcnt vmcnt(0)
	buffer_wbinvl1_vol
	v_cmp_eq_u64_e32 vcc, v[13:14], v[31:32]
	s_or_b64 s[18:19], vcc, s[18:19]
	s_andn2_b64 exec, exec, s[18:19]
	s_cbranch_execnz .LBB1_204
; %bb.205:                              ;   in Loop: Header=BB1_145 Depth=1
	s_or_b64 exec, exec, s[18:19]
.LBB1_206:                              ;   in Loop: Header=BB1_145 Depth=1
	s_or_b64 exec, exec, s[16:17]
.LBB1_207:                              ;   in Loop: Header=BB1_145 Depth=1
	s_or_b64 exec, exec, s[14:15]
	global_load_dwordx2 v[36:37], v33, s[10:11] offset:40
	global_load_dwordx4 v[29:32], v33, s[10:11]
	v_readfirstlane_b32 s15, v14
	v_readfirstlane_b32 s14, v13
	s_mov_b64 s[16:17], exec
	s_waitcnt vmcnt(1)
	v_readfirstlane_b32 s18, v36
	v_readfirstlane_b32 s19, v37
	s_and_b64 s[18:19], s[18:19], s[14:15]
	s_mul_i32 s20, s19, 24
	s_mul_hi_u32 s21, s18, 24
	s_mul_i32 s24, s18, 24
	s_add_i32 s20, s21, s20
	v_mov_b32_e32 v13, s20
	s_waitcnt vmcnt(0)
	v_add_co_u32_e32 v36, vcc, s24, v29
	v_addc_co_u32_e32 v37, vcc, v30, v13, vcc
	s_and_saveexec_b64 s[20:21], s[4:5]
	s_cbranch_execz .LBB1_209
; %bb.208:                              ;   in Loop: Header=BB1_145 Depth=1
	v_mov_b32_e32 v13, s16
	v_mov_b32_e32 v14, s17
	global_store_dwordx4 v[36:37], v[13:16], off offset:8
.LBB1_209:                              ;   in Loop: Header=BB1_145 Depth=1
	s_or_b64 exec, exec, s[20:21]
	s_lshl_b64 s[16:17], s[18:19], 12
	v_mov_b32_e32 v13, s17
	v_add_co_u32_e32 v31, vcc, s16, v31
	v_addc_co_u32_e32 v49, vcc, v32, v13, vcc
	v_cmp_gt_u64_e32 vcc, 57, v[0:1]
	v_and_b32_e32 v9, 0xffffff1f, v9
	v_cndmask_b32_e32 v13, 0, v48, vcc
	v_lshl_add_u32 v14, v34, 2, 28
	v_or_b32_e32 v9, v9, v13
	v_and_or_b32 v9, v14, s23, v9
	v_readfirstlane_b32 s16, v31
	v_readfirstlane_b32 s17, v49
	s_nop 4
	global_store_dwordx4 v39, v[9:12], s[16:17]
	global_store_dwordx4 v39, v[17:20], s[16:17] offset:16
	global_store_dwordx4 v39, v[21:24], s[16:17] offset:32
	;; [unrolled: 1-line block ×3, first 2 shown]
	s_and_saveexec_b64 s[16:17], s[4:5]
	s_cbranch_execz .LBB1_217
; %bb.210:                              ;   in Loop: Header=BB1_145 Depth=1
	global_load_dwordx2 v[19:20], v33, s[10:11] offset:32 glc
	global_load_dwordx2 v[9:10], v33, s[10:11] offset:40
	v_mov_b32_e32 v17, s14
	v_mov_b32_e32 v18, s15
	s_waitcnt vmcnt(0)
	v_readfirstlane_b32 s18, v9
	v_readfirstlane_b32 s19, v10
	s_and_b64 s[18:19], s[18:19], s[14:15]
	s_mul_i32 s19, s19, 24
	s_mul_hi_u32 s20, s18, 24
	s_mul_i32 s18, s18, 24
	s_add_i32 s19, s20, s19
	v_mov_b32_e32 v9, s19
	v_add_co_u32_e32 v13, vcc, s18, v29
	v_addc_co_u32_e32 v14, vcc, v30, v9, vcc
	global_store_dwordx2 v[13:14], v[19:20], off
	s_waitcnt vmcnt(0)
	global_atomic_cmpswap_x2 v[11:12], v33, v[17:20], s[10:11] offset:32 glc
	s_waitcnt vmcnt(0)
	v_cmp_ne_u64_e32 vcc, v[11:12], v[19:20]
	s_and_saveexec_b64 s[18:19], vcc
	s_cbranch_execz .LBB1_213
; %bb.211:                              ;   in Loop: Header=BB1_145 Depth=1
	s_mov_b64 s[20:21], 0
.LBB1_212:                              ;   Parent Loop BB1_145 Depth=1
                                        ; =>  This Inner Loop Header: Depth=2
	s_sleep 1
	global_store_dwordx2 v[13:14], v[11:12], off
	v_mov_b32_e32 v9, s14
	v_mov_b32_e32 v10, s15
	s_waitcnt vmcnt(0)
	global_atomic_cmpswap_x2 v[9:10], v33, v[9:12], s[10:11] offset:32 glc
	s_waitcnt vmcnt(0)
	v_cmp_eq_u64_e32 vcc, v[9:10], v[11:12]
	v_mov_b32_e32 v12, v10
	s_or_b64 s[20:21], vcc, s[20:21]
	v_mov_b32_e32 v11, v9
	s_andn2_b64 exec, exec, s[20:21]
	s_cbranch_execnz .LBB1_212
.LBB1_213:                              ;   in Loop: Header=BB1_145 Depth=1
	s_or_b64 exec, exec, s[18:19]
	global_load_dwordx2 v[9:10], v33, s[10:11] offset:16
	s_mov_b64 s[20:21], exec
	v_mbcnt_lo_u32_b32 v11, s20, 0
	v_mbcnt_hi_u32_b32 v11, s21, v11
	v_cmp_eq_u32_e32 vcc, 0, v11
	s_and_saveexec_b64 s[18:19], vcc
	s_cbranch_execz .LBB1_215
; %bb.214:                              ;   in Loop: Header=BB1_145 Depth=1
	s_bcnt1_i32_b64 s20, s[20:21]
	v_mov_b32_e32 v32, s20
	s_waitcnt vmcnt(0)
	global_atomic_add_x2 v[9:10], v[32:33], off offset:8
.LBB1_215:                              ;   in Loop: Header=BB1_145 Depth=1
	s_or_b64 exec, exec, s[18:19]
	s_waitcnt vmcnt(0)
	global_load_dwordx2 v[11:12], v[9:10], off offset:16
	s_waitcnt vmcnt(0)
	v_cmp_eq_u64_e32 vcc, 0, v[11:12]
	s_cbranch_vccnz .LBB1_217
; %bb.216:                              ;   in Loop: Header=BB1_145 Depth=1
	global_load_dword v32, v[9:10], off offset:24
	s_waitcnt vmcnt(0)
	v_readfirstlane_b32 s18, v32
	s_and_b32 m0, s18, 0xffffff
	global_store_dwordx2 v[11:12], v[32:33], off
	s_sendmsg sendmsg(MSG_INTERRUPT)
.LBB1_217:                              ;   in Loop: Header=BB1_145 Depth=1
	s_or_b64 exec, exec, s[16:17]
	v_add_co_u32_e32 v9, vcc, v31, v39
	v_addc_co_u32_e32 v10, vcc, 0, v49, vcc
	s_branch .LBB1_221
.LBB1_218:                              ;   in Loop: Header=BB1_221 Depth=2
	s_or_b64 exec, exec, s[16:17]
	v_readfirstlane_b32 s16, v11
	s_cmp_eq_u32 s16, 0
	s_cbranch_scc1 .LBB1_220
; %bb.219:                              ;   in Loop: Header=BB1_221 Depth=2
	s_sleep 1
	s_cbranch_execnz .LBB1_221
	s_branch .LBB1_223
.LBB1_220:                              ;   in Loop: Header=BB1_145 Depth=1
	s_branch .LBB1_223
.LBB1_221:                              ;   Parent Loop BB1_145 Depth=1
                                        ; =>  This Inner Loop Header: Depth=2
	v_mov_b32_e32 v11, 1
	s_and_saveexec_b64 s[16:17], s[4:5]
	s_cbranch_execz .LBB1_218
; %bb.222:                              ;   in Loop: Header=BB1_221 Depth=2
	global_load_dword v11, v[36:37], off offset:20 glc
	s_waitcnt vmcnt(0)
	buffer_wbinvl1_vol
	v_and_b32_e32 v11, 1, v11
	s_branch .LBB1_218
.LBB1_223:                              ;   in Loop: Header=BB1_145 Depth=1
	global_load_dwordx2 v[9:10], v[9:10], off
	s_and_saveexec_b64 s[16:17], s[4:5]
	s_cbranch_execz .LBB1_144
; %bb.224:                              ;   in Loop: Header=BB1_145 Depth=1
	global_load_dwordx2 v[11:12], v33, s[10:11] offset:40
	global_load_dwordx2 v[21:22], v33, s[10:11] offset:24 glc
	global_load_dwordx2 v[13:14], v33, s[10:11]
	s_waitcnt vmcnt(2)
	v_readfirstlane_b32 s18, v11
	v_readfirstlane_b32 s19, v12
	s_add_u32 s20, s18, 1
	s_addc_u32 s21, s19, 0
	s_add_u32 s4, s20, s14
	s_addc_u32 s5, s21, s15
	s_cmp_eq_u64 s[4:5], 0
	s_cselect_b32 s5, s21, s5
	s_cselect_b32 s4, s20, s4
	s_and_b64 s[14:15], s[4:5], s[18:19]
	s_mul_i32 s15, s15, 24
	s_mul_hi_u32 s18, s14, 24
	s_mul_i32 s14, s14, 24
	s_add_i32 s15, s18, s15
	v_mov_b32_e32 v11, s15
	s_waitcnt vmcnt(0)
	v_add_co_u32_e32 v17, vcc, s14, v13
	v_addc_co_u32_e32 v18, vcc, v14, v11, vcc
	v_mov_b32_e32 v19, s4
	global_store_dwordx2 v[17:18], v[21:22], off
	v_mov_b32_e32 v20, s5
	s_waitcnt vmcnt(0)
	global_atomic_cmpswap_x2 v[13:14], v33, v[19:22], s[10:11] offset:24 glc
	s_waitcnt vmcnt(0)
	v_cmp_ne_u64_e32 vcc, v[13:14], v[21:22]
	s_and_b64 exec, exec, vcc
	s_cbranch_execz .LBB1_144
; %bb.225:                              ;   in Loop: Header=BB1_145 Depth=1
	s_mov_b64 s[14:15], 0
.LBB1_226:                              ;   Parent Loop BB1_145 Depth=1
                                        ; =>  This Inner Loop Header: Depth=2
	s_sleep 1
	global_store_dwordx2 v[17:18], v[13:14], off
	v_mov_b32_e32 v11, s4
	v_mov_b32_e32 v12, s5
	s_waitcnt vmcnt(0)
	global_atomic_cmpswap_x2 v[11:12], v33, v[11:14], s[10:11] offset:24 glc
	s_waitcnt vmcnt(0)
	v_cmp_eq_u64_e32 vcc, v[11:12], v[13:14]
	v_mov_b32_e32 v14, v12
	s_or_b64 s[14:15], vcc, s[14:15]
	v_mov_b32_e32 v13, v11
	s_andn2_b64 exec, exec, s[14:15]
	s_cbranch_execnz .LBB1_226
	s_branch .LBB1_144
.LBB1_227:
	s_or_b64 exec, exec, s[12:13]
.LBB1_228:
	s_andn2_saveexec_b64 s[6:7], s[6:7]
	s_cbranch_execz .LBB1_255
; %bb.229:
	v_readfirstlane_b32 s4, v38
	v_mov_b32_e32 v12, 0
	v_mov_b32_e32 v13, 0
	v_cmp_eq_u32_e64 s[4:5], s4, v38
	s_and_saveexec_b64 s[12:13], s[4:5]
	s_cbranch_execz .LBB1_235
; %bb.230:
	v_mov_b32_e32 v0, 0
	global_load_dwordx2 v[14:15], v0, s[10:11] offset:24 glc
	s_waitcnt vmcnt(0)
	buffer_wbinvl1_vol
	global_load_dwordx2 v[1:2], v0, s[10:11] offset:40
	global_load_dwordx2 v[11:12], v0, s[10:11]
	s_waitcnt vmcnt(1)
	v_and_b32_e32 v1, v1, v14
	v_and_b32_e32 v2, v2, v15
	v_mul_lo_u32 v2, v2, 24
	v_mul_hi_u32 v3, v1, 24
	v_mul_lo_u32 v1, v1, 24
	v_add_u32_e32 v2, v3, v2
	s_waitcnt vmcnt(0)
	v_add_co_u32_e32 v1, vcc, v11, v1
	v_addc_co_u32_e32 v2, vcc, v12, v2, vcc
	global_load_dwordx2 v[12:13], v[1:2], off glc
	s_waitcnt vmcnt(0)
	global_atomic_cmpswap_x2 v[12:13], v0, v[12:15], s[10:11] offset:24 glc
	s_waitcnt vmcnt(0)
	buffer_wbinvl1_vol
	v_cmp_ne_u64_e32 vcc, v[12:13], v[14:15]
	s_and_saveexec_b64 s[14:15], vcc
	s_cbranch_execz .LBB1_234
; %bb.231:
	s_mov_b64 s[16:17], 0
.LBB1_232:                              ; =>This Inner Loop Header: Depth=1
	s_sleep 1
	global_load_dwordx2 v[1:2], v0, s[10:11] offset:40
	global_load_dwordx2 v[16:17], v0, s[10:11]
	v_mov_b32_e32 v15, v13
	v_mov_b32_e32 v14, v12
	s_waitcnt vmcnt(1)
	v_and_b32_e32 v1, v1, v14
	s_waitcnt vmcnt(0)
	v_mad_u64_u32 v[11:12], s[18:19], v1, 24, v[16:17]
	v_and_b32_e32 v2, v2, v15
	v_mov_b32_e32 v1, v12
	v_mad_u64_u32 v[1:2], s[18:19], v2, 24, v[1:2]
	v_mov_b32_e32 v12, v1
	global_load_dwordx2 v[12:13], v[11:12], off glc
	s_waitcnt vmcnt(0)
	global_atomic_cmpswap_x2 v[12:13], v0, v[12:15], s[10:11] offset:24 glc
	s_waitcnt vmcnt(0)
	buffer_wbinvl1_vol
	v_cmp_eq_u64_e32 vcc, v[12:13], v[14:15]
	s_or_b64 s[16:17], vcc, s[16:17]
	s_andn2_b64 exec, exec, s[16:17]
	s_cbranch_execnz .LBB1_232
; %bb.233:
	s_or_b64 exec, exec, s[16:17]
.LBB1_234:
	s_or_b64 exec, exec, s[14:15]
.LBB1_235:
	s_or_b64 exec, exec, s[12:13]
	v_mov_b32_e32 v11, 0
	global_load_dwordx2 v[14:15], v11, s[10:11] offset:40
	global_load_dwordx4 v[0:3], v11, s[10:11]
	v_readfirstlane_b32 s13, v13
	v_readfirstlane_b32 s12, v12
	s_mov_b64 s[14:15], exec
	s_waitcnt vmcnt(1)
	v_readfirstlane_b32 s16, v14
	v_readfirstlane_b32 s17, v15
	s_and_b64 s[16:17], s[16:17], s[12:13]
	s_mul_i32 s18, s17, 24
	s_mul_hi_u32 s19, s16, 24
	s_mul_i32 s20, s16, 24
	s_add_i32 s18, s19, s18
	v_mov_b32_e32 v12, s18
	s_waitcnt vmcnt(0)
	v_add_co_u32_e32 v13, vcc, s20, v0
	v_addc_co_u32_e32 v14, vcc, v1, v12, vcc
	s_and_saveexec_b64 s[18:19], s[4:5]
	s_cbranch_execz .LBB1_237
; %bb.236:
	v_mov_b32_e32 v16, s15
	v_mov_b32_e32 v15, s14
	;; [unrolled: 1-line block ×4, first 2 shown]
	global_store_dwordx4 v[13:14], v[15:18], off offset:8
.LBB1_237:
	s_or_b64 exec, exec, s[18:19]
	s_lshl_b64 s[14:15], s[16:17], 12
	v_mov_b32_e32 v12, s15
	v_add_co_u32_e32 v2, vcc, s14, v2
	v_addc_co_u32_e32 v3, vcc, v3, v12, vcc
	s_movk_i32 s14, 0xff1f
	v_and_or_b32 v9, v9, s14, 32
	s_mov_b32 s16, 0
	v_mov_b32_e32 v12, v11
	v_readfirstlane_b32 s14, v2
	v_readfirstlane_b32 s15, v3
	v_add_co_u32_e32 v15, vcc, v2, v39
	s_mov_b32 s17, s16
	s_mov_b32 s18, s16
	;; [unrolled: 1-line block ×3, first 2 shown]
	s_nop 0
	global_store_dwordx4 v39, v[9:12], s[14:15]
	v_addc_co_u32_e32 v16, vcc, 0, v3, vcc
	v_mov_b32_e32 v9, s16
	v_mov_b32_e32 v10, s17
	;; [unrolled: 1-line block ×4, first 2 shown]
	global_store_dwordx4 v39, v[9:12], s[14:15] offset:16
	global_store_dwordx4 v39, v[9:12], s[14:15] offset:32
	;; [unrolled: 1-line block ×3, first 2 shown]
	s_and_saveexec_b64 s[14:15], s[4:5]
	s_cbranch_execz .LBB1_245
; %bb.238:
	v_mov_b32_e32 v11, 0
	global_load_dwordx2 v[19:20], v11, s[10:11] offset:32 glc
	global_load_dwordx2 v[2:3], v11, s[10:11] offset:40
	v_mov_b32_e32 v17, s12
	v_mov_b32_e32 v18, s13
	s_waitcnt vmcnt(0)
	v_readfirstlane_b32 s16, v2
	v_readfirstlane_b32 s17, v3
	s_and_b64 s[16:17], s[16:17], s[12:13]
	s_mul_i32 s17, s17, 24
	s_mul_hi_u32 s18, s16, 24
	s_mul_i32 s16, s16, 24
	s_add_i32 s17, s18, s17
	v_mov_b32_e32 v2, s17
	v_add_co_u32_e32 v9, vcc, s16, v0
	v_addc_co_u32_e32 v10, vcc, v1, v2, vcc
	global_store_dwordx2 v[9:10], v[19:20], off
	s_waitcnt vmcnt(0)
	global_atomic_cmpswap_x2 v[2:3], v11, v[17:20], s[10:11] offset:32 glc
	s_waitcnt vmcnt(0)
	v_cmp_ne_u64_e32 vcc, v[2:3], v[19:20]
	s_and_saveexec_b64 s[16:17], vcc
	s_cbranch_execz .LBB1_241
; %bb.239:
	s_mov_b64 s[18:19], 0
.LBB1_240:                              ; =>This Inner Loop Header: Depth=1
	s_sleep 1
	global_store_dwordx2 v[9:10], v[2:3], off
	v_mov_b32_e32 v0, s12
	v_mov_b32_e32 v1, s13
	s_waitcnt vmcnt(0)
	global_atomic_cmpswap_x2 v[0:1], v11, v[0:3], s[10:11] offset:32 glc
	s_waitcnt vmcnt(0)
	v_cmp_eq_u64_e32 vcc, v[0:1], v[2:3]
	v_mov_b32_e32 v3, v1
	s_or_b64 s[18:19], vcc, s[18:19]
	v_mov_b32_e32 v2, v0
	s_andn2_b64 exec, exec, s[18:19]
	s_cbranch_execnz .LBB1_240
.LBB1_241:
	s_or_b64 exec, exec, s[16:17]
	v_mov_b32_e32 v3, 0
	global_load_dwordx2 v[0:1], v3, s[10:11] offset:16
	s_mov_b64 s[16:17], exec
	v_mbcnt_lo_u32_b32 v2, s16, 0
	v_mbcnt_hi_u32_b32 v2, s17, v2
	v_cmp_eq_u32_e32 vcc, 0, v2
	s_and_saveexec_b64 s[18:19], vcc
	s_cbranch_execz .LBB1_243
; %bb.242:
	s_bcnt1_i32_b64 s16, s[16:17]
	v_mov_b32_e32 v2, s16
	s_waitcnt vmcnt(0)
	global_atomic_add_x2 v[0:1], v[2:3], off offset:8
.LBB1_243:
	s_or_b64 exec, exec, s[18:19]
	s_waitcnt vmcnt(0)
	global_load_dwordx2 v[2:3], v[0:1], off offset:16
	s_waitcnt vmcnt(0)
	v_cmp_eq_u64_e32 vcc, 0, v[2:3]
	s_cbranch_vccnz .LBB1_245
; %bb.244:
	global_load_dword v0, v[0:1], off offset:24
	v_mov_b32_e32 v1, 0
	s_waitcnt vmcnt(0)
	v_readfirstlane_b32 s16, v0
	s_and_b32 m0, s16, 0xffffff
	global_store_dwordx2 v[2:3], v[0:1], off
	s_sendmsg sendmsg(MSG_INTERRUPT)
.LBB1_245:
	s_or_b64 exec, exec, s[14:15]
	s_branch .LBB1_249
.LBB1_246:                              ;   in Loop: Header=BB1_249 Depth=1
	s_or_b64 exec, exec, s[14:15]
	v_readfirstlane_b32 s14, v0
	s_cmp_eq_u32 s14, 0
	s_cbranch_scc1 .LBB1_248
; %bb.247:                              ;   in Loop: Header=BB1_249 Depth=1
	s_sleep 1
	s_cbranch_execnz .LBB1_249
	s_branch .LBB1_251
.LBB1_248:
	s_branch .LBB1_251
.LBB1_249:                              ; =>This Inner Loop Header: Depth=1
	v_mov_b32_e32 v0, 1
	s_and_saveexec_b64 s[14:15], s[4:5]
	s_cbranch_execz .LBB1_246
; %bb.250:                              ;   in Loop: Header=BB1_249 Depth=1
	global_load_dword v0, v[13:14], off offset:20 glc
	s_waitcnt vmcnt(0)
	buffer_wbinvl1_vol
	v_and_b32_e32 v0, 1, v0
	s_branch .LBB1_246
.LBB1_251:
	global_load_dwordx2 v[9:10], v[15:16], off
	s_and_saveexec_b64 s[14:15], s[4:5]
	s_cbranch_execz .LBB1_254
; %bb.252:
	v_mov_b32_e32 v13, 0
	global_load_dwordx2 v[0:1], v13, s[10:11] offset:40
	global_load_dwordx2 v[16:17], v13, s[10:11] offset:24 glc
	global_load_dwordx2 v[2:3], v13, s[10:11]
	s_waitcnt vmcnt(2)
	v_readfirstlane_b32 s16, v0
	v_readfirstlane_b32 s17, v1
	s_add_u32 s18, s16, 1
	s_addc_u32 s19, s17, 0
	s_add_u32 s4, s18, s12
	s_addc_u32 s5, s19, s13
	s_cmp_eq_u64 s[4:5], 0
	s_cselect_b32 s5, s19, s5
	s_cselect_b32 s4, s18, s4
	s_and_b64 s[12:13], s[4:5], s[16:17]
	s_mul_i32 s13, s13, 24
	s_mul_hi_u32 s16, s12, 24
	s_mul_i32 s12, s12, 24
	s_add_i32 s13, s16, s13
	v_mov_b32_e32 v0, s13
	s_waitcnt vmcnt(0)
	v_add_co_u32_e32 v11, vcc, s12, v2
	v_addc_co_u32_e32 v12, vcc, v3, v0, vcc
	v_mov_b32_e32 v14, s4
	global_store_dwordx2 v[11:12], v[16:17], off
	v_mov_b32_e32 v15, s5
	s_waitcnt vmcnt(0)
	global_atomic_cmpswap_x2 v[2:3], v13, v[14:17], s[10:11] offset:24 glc
	s_mov_b64 s[12:13], 0
	s_waitcnt vmcnt(0)
	v_cmp_ne_u64_e32 vcc, v[2:3], v[16:17]
	s_and_b64 exec, exec, vcc
	s_cbranch_execz .LBB1_254
.LBB1_253:                              ; =>This Inner Loop Header: Depth=1
	s_sleep 1
	global_store_dwordx2 v[11:12], v[2:3], off
	v_mov_b32_e32 v0, s4
	v_mov_b32_e32 v1, s5
	s_waitcnt vmcnt(0)
	global_atomic_cmpswap_x2 v[0:1], v13, v[0:3], s[10:11] offset:24 glc
	s_waitcnt vmcnt(0)
	v_cmp_eq_u64_e32 vcc, v[0:1], v[2:3]
	v_mov_b32_e32 v3, v1
	s_or_b64 s[12:13], vcc, s[12:13]
	v_mov_b32_e32 v2, v0
	s_andn2_b64 exec, exec, s[12:13]
	s_cbranch_execnz .LBB1_253
.LBB1_254:
	s_or_b64 exec, exec, s[14:15]
.LBB1_255:
	s_or_b64 exec, exec, s[6:7]
	v_readfirstlane_b32 s4, v38
	v_mov_b32_e32 v13, 0
	v_mov_b32_e32 v14, 0
	v_cmp_eq_u32_e64 s[4:5], s4, v38
	s_and_saveexec_b64 s[6:7], s[4:5]
	s_cbranch_execz .LBB1_261
; %bb.256:
	v_mov_b32_e32 v0, 0
	global_load_dwordx2 v[15:16], v0, s[10:11] offset:24 glc
	s_waitcnt vmcnt(0)
	buffer_wbinvl1_vol
	global_load_dwordx2 v[1:2], v0, s[10:11] offset:40
	global_load_dwordx2 v[11:12], v0, s[10:11]
	s_waitcnt vmcnt(1)
	v_and_b32_e32 v1, v1, v15
	v_and_b32_e32 v2, v2, v16
	v_mul_lo_u32 v2, v2, 24
	v_mul_hi_u32 v3, v1, 24
	v_mul_lo_u32 v1, v1, 24
	v_add_u32_e32 v2, v3, v2
	s_waitcnt vmcnt(0)
	v_add_co_u32_e32 v1, vcc, v11, v1
	v_addc_co_u32_e32 v2, vcc, v12, v2, vcc
	global_load_dwordx2 v[13:14], v[1:2], off glc
	s_waitcnt vmcnt(0)
	global_atomic_cmpswap_x2 v[13:14], v0, v[13:16], s[10:11] offset:24 glc
	s_waitcnt vmcnt(0)
	buffer_wbinvl1_vol
	v_cmp_ne_u64_e32 vcc, v[13:14], v[15:16]
	s_and_saveexec_b64 s[12:13], vcc
	s_cbranch_execz .LBB1_260
; %bb.257:
	s_mov_b64 s[14:15], 0
.LBB1_258:                              ; =>This Inner Loop Header: Depth=1
	s_sleep 1
	global_load_dwordx2 v[1:2], v0, s[10:11] offset:40
	global_load_dwordx2 v[11:12], v0, s[10:11]
	v_mov_b32_e32 v16, v14
	v_mov_b32_e32 v15, v13
	s_waitcnt vmcnt(1)
	v_and_b32_e32 v1, v1, v15
	s_waitcnt vmcnt(0)
	v_mad_u64_u32 v[11:12], s[16:17], v1, 24, v[11:12]
	v_and_b32_e32 v2, v2, v16
	v_mov_b32_e32 v1, v12
	v_mad_u64_u32 v[1:2], s[16:17], v2, 24, v[1:2]
	v_mov_b32_e32 v12, v1
	global_load_dwordx2 v[13:14], v[11:12], off glc
	s_waitcnt vmcnt(0)
	global_atomic_cmpswap_x2 v[13:14], v0, v[13:16], s[10:11] offset:24 glc
	s_waitcnt vmcnt(0)
	buffer_wbinvl1_vol
	v_cmp_eq_u64_e32 vcc, v[13:14], v[15:16]
	s_or_b64 s[14:15], vcc, s[14:15]
	s_andn2_b64 exec, exec, s[14:15]
	s_cbranch_execnz .LBB1_258
; %bb.259:
	s_or_b64 exec, exec, s[14:15]
.LBB1_260:
	s_or_b64 exec, exec, s[12:13]
.LBB1_261:
	s_or_b64 exec, exec, s[6:7]
	v_mov_b32_e32 v12, 0
	global_load_dwordx2 v[15:16], v12, s[10:11] offset:40
	global_load_dwordx4 v[0:3], v12, s[10:11]
	v_readfirstlane_b32 s7, v14
	v_readfirstlane_b32 s6, v13
	s_mov_b64 s[12:13], exec
	s_waitcnt vmcnt(1)
	v_readfirstlane_b32 s14, v15
	v_readfirstlane_b32 s15, v16
	s_and_b64 s[14:15], s[14:15], s[6:7]
	s_mul_i32 s16, s15, 24
	s_mul_hi_u32 s17, s14, 24
	s_mul_i32 s18, s14, 24
	s_add_i32 s16, s17, s16
	v_mov_b32_e32 v11, s16
	s_waitcnt vmcnt(0)
	v_add_co_u32_e32 v13, vcc, s18, v0
	v_addc_co_u32_e32 v14, vcc, v1, v11, vcc
	s_and_saveexec_b64 s[16:17], s[4:5]
	s_cbranch_execz .LBB1_263
; %bb.262:
	v_mov_b32_e32 v16, s13
	v_mov_b32_e32 v15, s12
	;; [unrolled: 1-line block ×4, first 2 shown]
	global_store_dwordx4 v[13:14], v[15:18], off offset:8
.LBB1_263:
	s_or_b64 exec, exec, s[16:17]
	s_lshl_b64 s[12:13], s[14:15], 12
	v_mov_b32_e32 v11, s13
	v_add_co_u32_e32 v2, vcc, s12, v2
	v_addc_co_u32_e32 v3, vcc, v3, v11, vcc
	s_movk_i32 s12, 0xff1f
	v_and_or_b32 v9, v9, s12, 32
	v_mov_b32_e32 v11, v4
	v_readfirstlane_b32 s16, v2
	v_readfirstlane_b32 s17, v3
	s_mov_b32 s12, 0
	v_add_co_u32_e32 v15, vcc, v2, v39
	s_mov_b32 s13, s12
	s_mov_b32 s14, s12
	s_nop 0
	global_store_dwordx4 v39, v[9:12], s[16:17]
	s_mov_b32 s15, s12
	v_mov_b32_e32 v9, s12
	v_addc_co_u32_e32 v16, vcc, 0, v3, vcc
	v_mov_b32_e32 v10, s13
	v_mov_b32_e32 v11, s14
	;; [unrolled: 1-line block ×3, first 2 shown]
	global_store_dwordx4 v39, v[9:12], s[16:17] offset:16
	global_store_dwordx4 v39, v[9:12], s[16:17] offset:32
	;; [unrolled: 1-line block ×3, first 2 shown]
	s_and_saveexec_b64 s[12:13], s[4:5]
	s_cbranch_execz .LBB1_271
; %bb.264:
	v_mov_b32_e32 v4, 0
	global_load_dwordx2 v[19:20], v4, s[10:11] offset:32 glc
	global_load_dwordx2 v[2:3], v4, s[10:11] offset:40
	v_mov_b32_e32 v17, s6
	v_mov_b32_e32 v18, s7
	s_waitcnt vmcnt(0)
	v_readfirstlane_b32 s14, v2
	v_readfirstlane_b32 s15, v3
	s_and_b64 s[14:15], s[14:15], s[6:7]
	s_mul_i32 s15, s15, 24
	s_mul_hi_u32 s16, s14, 24
	s_mul_i32 s14, s14, 24
	s_add_i32 s15, s16, s15
	v_mov_b32_e32 v2, s15
	v_add_co_u32_e32 v9, vcc, s14, v0
	v_addc_co_u32_e32 v10, vcc, v1, v2, vcc
	global_store_dwordx2 v[9:10], v[19:20], off
	s_waitcnt vmcnt(0)
	global_atomic_cmpswap_x2 v[2:3], v4, v[17:20], s[10:11] offset:32 glc
	s_waitcnt vmcnt(0)
	v_cmp_ne_u64_e32 vcc, v[2:3], v[19:20]
	s_and_saveexec_b64 s[14:15], vcc
	s_cbranch_execz .LBB1_267
; %bb.265:
	s_mov_b64 s[16:17], 0
.LBB1_266:                              ; =>This Inner Loop Header: Depth=1
	s_sleep 1
	global_store_dwordx2 v[9:10], v[2:3], off
	v_mov_b32_e32 v0, s6
	v_mov_b32_e32 v1, s7
	s_waitcnt vmcnt(0)
	global_atomic_cmpswap_x2 v[0:1], v4, v[0:3], s[10:11] offset:32 glc
	s_waitcnt vmcnt(0)
	v_cmp_eq_u64_e32 vcc, v[0:1], v[2:3]
	v_mov_b32_e32 v3, v1
	s_or_b64 s[16:17], vcc, s[16:17]
	v_mov_b32_e32 v2, v0
	s_andn2_b64 exec, exec, s[16:17]
	s_cbranch_execnz .LBB1_266
.LBB1_267:
	s_or_b64 exec, exec, s[14:15]
	v_mov_b32_e32 v3, 0
	global_load_dwordx2 v[0:1], v3, s[10:11] offset:16
	s_mov_b64 s[14:15], exec
	v_mbcnt_lo_u32_b32 v2, s14, 0
	v_mbcnt_hi_u32_b32 v2, s15, v2
	v_cmp_eq_u32_e32 vcc, 0, v2
	s_and_saveexec_b64 s[16:17], vcc
	s_cbranch_execz .LBB1_269
; %bb.268:
	s_bcnt1_i32_b64 s14, s[14:15]
	v_mov_b32_e32 v2, s14
	s_waitcnt vmcnt(0)
	global_atomic_add_x2 v[0:1], v[2:3], off offset:8
.LBB1_269:
	s_or_b64 exec, exec, s[16:17]
	s_waitcnt vmcnt(0)
	global_load_dwordx2 v[2:3], v[0:1], off offset:16
	s_waitcnt vmcnt(0)
	v_cmp_eq_u64_e32 vcc, 0, v[2:3]
	s_cbranch_vccnz .LBB1_271
; %bb.270:
	global_load_dword v0, v[0:1], off offset:24
	v_mov_b32_e32 v1, 0
	s_waitcnt vmcnt(0)
	v_readfirstlane_b32 s14, v0
	s_and_b32 m0, s14, 0xffffff
	global_store_dwordx2 v[2:3], v[0:1], off
	s_sendmsg sendmsg(MSG_INTERRUPT)
.LBB1_271:
	s_or_b64 exec, exec, s[12:13]
	s_branch .LBB1_275
.LBB1_272:                              ;   in Loop: Header=BB1_275 Depth=1
	s_or_b64 exec, exec, s[12:13]
	v_readfirstlane_b32 s12, v0
	s_cmp_eq_u32 s12, 0
	s_cbranch_scc1 .LBB1_274
; %bb.273:                              ;   in Loop: Header=BB1_275 Depth=1
	s_sleep 1
	s_cbranch_execnz .LBB1_275
	s_branch .LBB1_277
.LBB1_274:
	s_branch .LBB1_277
.LBB1_275:                              ; =>This Inner Loop Header: Depth=1
	v_mov_b32_e32 v0, 1
	s_and_saveexec_b64 s[12:13], s[4:5]
	s_cbranch_execz .LBB1_272
; %bb.276:                              ;   in Loop: Header=BB1_275 Depth=1
	global_load_dword v0, v[13:14], off offset:20 glc
	s_waitcnt vmcnt(0)
	buffer_wbinvl1_vol
	v_and_b32_e32 v0, 1, v0
	s_branch .LBB1_272
.LBB1_277:
	global_load_dwordx2 v[0:1], v[15:16], off
	s_and_saveexec_b64 s[12:13], s[4:5]
	s_cbranch_execz .LBB1_280
; %bb.278:
	v_mov_b32_e32 v4, 0
	global_load_dwordx2 v[2:3], v4, s[10:11] offset:40
	global_load_dwordx2 v[13:14], v4, s[10:11] offset:24 glc
	global_load_dwordx2 v[9:10], v4, s[10:11]
	s_waitcnt vmcnt(2)
	v_readfirstlane_b32 s14, v2
	v_readfirstlane_b32 s15, v3
	s_add_u32 s16, s14, 1
	s_addc_u32 s17, s15, 0
	s_add_u32 s4, s16, s6
	s_addc_u32 s5, s17, s7
	s_cmp_eq_u64 s[4:5], 0
	s_cselect_b32 s5, s17, s5
	s_cselect_b32 s4, s16, s4
	s_and_b64 s[6:7], s[4:5], s[14:15]
	s_mul_i32 s7, s7, 24
	s_mul_hi_u32 s14, s6, 24
	s_mul_i32 s6, s6, 24
	s_add_i32 s7, s14, s7
	v_mov_b32_e32 v3, s7
	s_waitcnt vmcnt(0)
	v_add_co_u32_e32 v2, vcc, s6, v9
	v_addc_co_u32_e32 v3, vcc, v10, v3, vcc
	v_mov_b32_e32 v11, s4
	global_store_dwordx2 v[2:3], v[13:14], off
	v_mov_b32_e32 v12, s5
	s_waitcnt vmcnt(0)
	global_atomic_cmpswap_x2 v[11:12], v4, v[11:14], s[10:11] offset:24 glc
	s_mov_b64 s[6:7], 0
	s_waitcnt vmcnt(0)
	v_cmp_ne_u64_e32 vcc, v[11:12], v[13:14]
	s_and_b64 exec, exec, vcc
	s_cbranch_execz .LBB1_280
.LBB1_279:                              ; =>This Inner Loop Header: Depth=1
	s_sleep 1
	global_store_dwordx2 v[2:3], v[11:12], off
	v_mov_b32_e32 v9, s4
	v_mov_b32_e32 v10, s5
	s_waitcnt vmcnt(0)
	global_atomic_cmpswap_x2 v[9:10], v4, v[9:12], s[10:11] offset:24 glc
	s_waitcnt vmcnt(0)
	v_cmp_eq_u64_e32 vcc, v[9:10], v[11:12]
	v_mov_b32_e32 v12, v10
	s_or_b64 s[6:7], vcc, s[6:7]
	v_mov_b32_e32 v11, v9
	s_andn2_b64 exec, exec, s[6:7]
	s_cbranch_execnz .LBB1_279
.LBB1_280:
	s_or_b64 exec, exec, s[12:13]
	v_mov_b32_e32 v3, v5
	s_mov_b64 s[4:5], 0
	v_mov_b32_e32 v4, v6
.LBB1_281:                              ; =>This Inner Loop Header: Depth=1
	global_load_ubyte v9, v[3:4], off
	v_add_co_u32_e32 v2, vcc, 1, v3
	v_addc_co_u32_e32 v3, vcc, 0, v4, vcc
	v_mov_b32_e32 v4, v3
	v_mov_b32_e32 v3, v2
	s_waitcnt vmcnt(0)
	v_cmp_eq_u16_e32 vcc, 0, v9
	s_or_b64 s[4:5], vcc, s[4:5]
	s_andn2_b64 exec, exec, s[4:5]
	s_cbranch_execnz .LBB1_281
; %bb.282:
	s_or_b64 exec, exec, s[4:5]
	v_cmp_ne_u64_e32 vcc, 0, v[5:6]
	s_mov_b64 s[12:13], 0
	s_and_saveexec_b64 s[4:5], vcc
	s_xor_b64 s[6:7], exec, s[4:5]
	s_cbranch_execz .LBB1_368
; %bb.283:
	v_sub_u32_e32 v29, v2, v5
	v_ashrrev_i32_e32 v30, 31, v29
	v_and_b32_e32 v35, 2, v0
	v_mov_b32_e32 v4, 0
	v_and_b32_e32 v0, -3, v0
	s_mov_b32 s22, 0
	s_movk_i32 s23, 0x1e0
	v_mov_b32_e32 v11, 2
	v_mov_b32_e32 v12, 1
	s_branch .LBB1_285
.LBB1_284:                              ;   in Loop: Header=BB1_285 Depth=1
	s_or_b64 exec, exec, s[16:17]
	v_sub_co_u32_e32 v29, vcc, v29, v31
	v_subb_co_u32_e32 v30, vcc, v30, v32, vcc
	v_cmp_eq_u64_e32 vcc, 0, v[29:30]
	s_or_b64 s[12:13], vcc, s[12:13]
	v_add_co_u32_e32 v5, vcc, v5, v31
	v_addc_co_u32_e32 v6, vcc, v6, v32, vcc
	s_andn2_b64 exec, exec, s[12:13]
	s_cbranch_execz .LBB1_367
.LBB1_285:                              ; =>This Loop Header: Depth=1
                                        ;     Child Loop BB1_288 Depth 2
                                        ;     Child Loop BB1_296 Depth 2
	;; [unrolled: 1-line block ×11, first 2 shown]
	v_cmp_gt_u64_e32 vcc, 56, v[29:30]
	v_add_co_u32_e64 v15, s[4:5], 8, v5
	v_cndmask_b32_e32 v32, 0, v30, vcc
	v_cndmask_b32_e32 v31, 56, v29, vcc
	v_cmp_gt_u64_e32 vcc, 8, v[29:30]
	v_addc_co_u32_e64 v16, s[4:5], 0, v6, s[4:5]
	s_and_saveexec_b64 s[4:5], vcc
	s_xor_b64 s[4:5], exec, s[4:5]
	s_cbranch_execz .LBB1_291
; %bb.286:                              ;   in Loop: Header=BB1_285 Depth=1
	v_mov_b32_e32 v2, 0
	v_cmp_ne_u64_e32 vcc, 0, v[29:30]
	v_mov_b32_e32 v3, 0
	s_and_saveexec_b64 s[14:15], vcc
	s_cbranch_execz .LBB1_290
; %bb.287:                              ;   in Loop: Header=BB1_285 Depth=1
	v_lshlrev_b64 v[9:10], 3, v[31:32]
	v_mov_b32_e32 v2, 0
	v_mov_b32_e32 v14, v6
	s_mov_b64 s[16:17], 0
	v_mov_b32_e32 v3, 0
	v_mov_b32_e32 v13, v5
	s_mov_b64 s[18:19], 0
.LBB1_288:                              ;   Parent Loop BB1_285 Depth=1
                                        ; =>  This Inner Loop Header: Depth=2
	global_load_ubyte v10, v[13:14], off
	v_mov_b32_e32 v16, s22
	v_add_co_u32_e32 v13, vcc, 1, v13
	v_addc_co_u32_e32 v14, vcc, 0, v14, vcc
	s_waitcnt vmcnt(0)
	v_and_b32_e32 v15, 0xffff, v10
	v_lshlrev_b64 v[15:16], s18, v[15:16]
	s_add_u32 s18, s18, 8
	s_addc_u32 s19, s19, 0
	v_cmp_eq_u32_e32 vcc, s18, v9
	v_or_b32_e32 v3, v16, v3
	s_or_b64 s[16:17], vcc, s[16:17]
	v_or_b32_e32 v2, v15, v2
	s_andn2_b64 exec, exec, s[16:17]
	s_cbranch_execnz .LBB1_288
; %bb.289:                              ;   in Loop: Header=BB1_285 Depth=1
	s_or_b64 exec, exec, s[16:17]
.LBB1_290:                              ;   in Loop: Header=BB1_285 Depth=1
	s_or_b64 exec, exec, s[14:15]
	v_mov_b32_e32 v16, v6
	v_mov_b32_e32 v15, v5
.LBB1_291:                              ;   in Loop: Header=BB1_285 Depth=1
	s_or_saveexec_b64 s[4:5], s[4:5]
	v_mov_b32_e32 v17, 0
	s_xor_b64 exec, exec, s[4:5]
	s_cbranch_execz .LBB1_293
; %bb.292:                              ;   in Loop: Header=BB1_285 Depth=1
	global_load_dwordx2 v[2:3], v[5:6], off
	v_add_u32_e32 v17, -8, v31
.LBB1_293:                              ;   in Loop: Header=BB1_285 Depth=1
	s_or_b64 exec, exec, s[4:5]
	v_add_co_u32_e64 v9, s[4:5], 8, v15
	v_cmp_gt_u32_e32 vcc, 8, v17
	v_addc_co_u32_e64 v10, s[4:5], 0, v16, s[4:5]
                                        ; implicit-def: $vgpr13_vgpr14
	s_and_saveexec_b64 s[4:5], vcc
	s_xor_b64 s[4:5], exec, s[4:5]
	s_cbranch_execz .LBB1_299
; %bb.294:                              ;   in Loop: Header=BB1_285 Depth=1
	v_mov_b32_e32 v13, 0
	v_mov_b32_e32 v14, 0
	v_cmp_ne_u32_e32 vcc, 0, v17
	s_and_saveexec_b64 s[14:15], vcc
	s_cbranch_execz .LBB1_298
; %bb.295:                              ;   in Loop: Header=BB1_285 Depth=1
	v_mov_b32_e32 v13, 0
	s_mov_b64 s[16:17], 0
	v_mov_b32_e32 v14, 0
	s_mov_b64 s[18:19], 0
	s_mov_b64 s[20:21], 0
.LBB1_296:                              ;   Parent Loop BB1_285 Depth=1
                                        ; =>  This Inner Loop Header: Depth=2
	v_mov_b32_e32 v10, s21
	v_add_co_u32_e32 v9, vcc, s20, v15
	v_addc_co_u32_e32 v10, vcc, v16, v10, vcc
	global_load_ubyte v9, v[9:10], off
	s_add_u32 s20, s20, 1
	v_mov_b32_e32 v10, s22
	s_addc_u32 s21, s21, 0
	v_cmp_eq_u32_e32 vcc, s20, v17
	s_waitcnt vmcnt(0)
	v_and_b32_e32 v9, 0xffff, v9
	v_lshlrev_b64 v[9:10], s18, v[9:10]
	s_add_u32 s18, s18, 8
	s_addc_u32 s19, s19, 0
	v_or_b32_e32 v14, v10, v14
	s_or_b64 s[16:17], vcc, s[16:17]
	v_or_b32_e32 v13, v9, v13
	s_andn2_b64 exec, exec, s[16:17]
	s_cbranch_execnz .LBB1_296
; %bb.297:                              ;   in Loop: Header=BB1_285 Depth=1
	s_or_b64 exec, exec, s[16:17]
.LBB1_298:                              ;   in Loop: Header=BB1_285 Depth=1
	s_or_b64 exec, exec, s[14:15]
	v_mov_b32_e32 v9, v15
	v_mov_b32_e32 v10, v16
                                        ; implicit-def: $vgpr17
.LBB1_299:                              ;   in Loop: Header=BB1_285 Depth=1
	s_or_saveexec_b64 s[4:5], s[4:5]
	v_mov_b32_e32 v18, 0
	s_xor_b64 exec, exec, s[4:5]
	s_cbranch_execz .LBB1_301
; %bb.300:                              ;   in Loop: Header=BB1_285 Depth=1
	global_load_dwordx2 v[13:14], v[15:16], off
	v_add_u32_e32 v18, -8, v17
.LBB1_301:                              ;   in Loop: Header=BB1_285 Depth=1
	s_or_b64 exec, exec, s[4:5]
	v_add_co_u32_e64 v19, s[4:5], 8, v9
	v_cmp_gt_u32_e32 vcc, 8, v18
	v_addc_co_u32_e64 v20, s[4:5], 0, v10, s[4:5]
	s_and_saveexec_b64 s[4:5], vcc
	s_xor_b64 s[4:5], exec, s[4:5]
	s_cbranch_execz .LBB1_307
; %bb.302:                              ;   in Loop: Header=BB1_285 Depth=1
	v_mov_b32_e32 v15, 0
	v_mov_b32_e32 v16, 0
	v_cmp_ne_u32_e32 vcc, 0, v18
	s_and_saveexec_b64 s[14:15], vcc
	s_cbranch_execz .LBB1_306
; %bb.303:                              ;   in Loop: Header=BB1_285 Depth=1
	v_mov_b32_e32 v15, 0
	s_mov_b64 s[16:17], 0
	v_mov_b32_e32 v16, 0
	s_mov_b64 s[18:19], 0
	s_mov_b64 s[20:21], 0
.LBB1_304:                              ;   Parent Loop BB1_285 Depth=1
                                        ; =>  This Inner Loop Header: Depth=2
	v_mov_b32_e32 v17, s21
	v_add_co_u32_e32 v19, vcc, s20, v9
	v_addc_co_u32_e32 v20, vcc, v10, v17, vcc
	global_load_ubyte v17, v[19:20], off
	s_add_u32 s20, s20, 1
	v_mov_b32_e32 v20, s22
	s_addc_u32 s21, s21, 0
	v_cmp_eq_u32_e32 vcc, s20, v18
	s_waitcnt vmcnt(0)
	v_and_b32_e32 v19, 0xffff, v17
	v_lshlrev_b64 v[19:20], s18, v[19:20]
	s_add_u32 s18, s18, 8
	s_addc_u32 s19, s19, 0
	v_or_b32_e32 v16, v20, v16
	s_or_b64 s[16:17], vcc, s[16:17]
	v_or_b32_e32 v15, v19, v15
	s_andn2_b64 exec, exec, s[16:17]
	s_cbranch_execnz .LBB1_304
; %bb.305:                              ;   in Loop: Header=BB1_285 Depth=1
	s_or_b64 exec, exec, s[16:17]
.LBB1_306:                              ;   in Loop: Header=BB1_285 Depth=1
	s_or_b64 exec, exec, s[14:15]
	v_mov_b32_e32 v20, v10
	v_mov_b32_e32 v19, v9
                                        ; implicit-def: $vgpr18
.LBB1_307:                              ;   in Loop: Header=BB1_285 Depth=1
	s_or_saveexec_b64 s[4:5], s[4:5]
	v_mov_b32_e32 v21, 0
	s_xor_b64 exec, exec, s[4:5]
	s_cbranch_execz .LBB1_309
; %bb.308:                              ;   in Loop: Header=BB1_285 Depth=1
	global_load_dwordx2 v[15:16], v[9:10], off
	v_add_u32_e32 v21, -8, v18
.LBB1_309:                              ;   in Loop: Header=BB1_285 Depth=1
	s_or_b64 exec, exec, s[4:5]
	v_add_co_u32_e64 v9, s[4:5], 8, v19
	v_cmp_gt_u32_e32 vcc, 8, v21
	v_addc_co_u32_e64 v10, s[4:5], 0, v20, s[4:5]
                                        ; implicit-def: $vgpr17_vgpr18
	s_and_saveexec_b64 s[4:5], vcc
	s_xor_b64 s[4:5], exec, s[4:5]
	s_cbranch_execz .LBB1_315
; %bb.310:                              ;   in Loop: Header=BB1_285 Depth=1
	v_mov_b32_e32 v17, 0
	v_mov_b32_e32 v18, 0
	v_cmp_ne_u32_e32 vcc, 0, v21
	s_and_saveexec_b64 s[14:15], vcc
	s_cbranch_execz .LBB1_314
; %bb.311:                              ;   in Loop: Header=BB1_285 Depth=1
	v_mov_b32_e32 v17, 0
	s_mov_b64 s[16:17], 0
	v_mov_b32_e32 v18, 0
	s_mov_b64 s[18:19], 0
	s_mov_b64 s[20:21], 0
.LBB1_312:                              ;   Parent Loop BB1_285 Depth=1
                                        ; =>  This Inner Loop Header: Depth=2
	v_mov_b32_e32 v10, s21
	v_add_co_u32_e32 v9, vcc, s20, v19
	v_addc_co_u32_e32 v10, vcc, v20, v10, vcc
	global_load_ubyte v9, v[9:10], off
	s_add_u32 s20, s20, 1
	v_mov_b32_e32 v10, s22
	s_addc_u32 s21, s21, 0
	v_cmp_eq_u32_e32 vcc, s20, v21
	s_waitcnt vmcnt(0)
	v_and_b32_e32 v9, 0xffff, v9
	v_lshlrev_b64 v[9:10], s18, v[9:10]
	s_add_u32 s18, s18, 8
	s_addc_u32 s19, s19, 0
	v_or_b32_e32 v18, v10, v18
	s_or_b64 s[16:17], vcc, s[16:17]
	v_or_b32_e32 v17, v9, v17
	s_andn2_b64 exec, exec, s[16:17]
	s_cbranch_execnz .LBB1_312
; %bb.313:                              ;   in Loop: Header=BB1_285 Depth=1
	s_or_b64 exec, exec, s[16:17]
.LBB1_314:                              ;   in Loop: Header=BB1_285 Depth=1
	s_or_b64 exec, exec, s[14:15]
	v_mov_b32_e32 v9, v19
	v_mov_b32_e32 v10, v20
                                        ; implicit-def: $vgpr21
.LBB1_315:                              ;   in Loop: Header=BB1_285 Depth=1
	s_or_saveexec_b64 s[4:5], s[4:5]
	v_mov_b32_e32 v22, 0
	s_xor_b64 exec, exec, s[4:5]
	s_cbranch_execz .LBB1_317
; %bb.316:                              ;   in Loop: Header=BB1_285 Depth=1
	global_load_dwordx2 v[17:18], v[19:20], off
	v_add_u32_e32 v22, -8, v21
.LBB1_317:                              ;   in Loop: Header=BB1_285 Depth=1
	s_or_b64 exec, exec, s[4:5]
	v_add_co_u32_e64 v23, s[4:5], 8, v9
	v_cmp_gt_u32_e32 vcc, 8, v22
	v_addc_co_u32_e64 v24, s[4:5], 0, v10, s[4:5]
	s_and_saveexec_b64 s[4:5], vcc
	s_xor_b64 s[4:5], exec, s[4:5]
	s_cbranch_execz .LBB1_323
; %bb.318:                              ;   in Loop: Header=BB1_285 Depth=1
	v_mov_b32_e32 v19, 0
	v_mov_b32_e32 v20, 0
	v_cmp_ne_u32_e32 vcc, 0, v22
	s_and_saveexec_b64 s[14:15], vcc
	s_cbranch_execz .LBB1_322
; %bb.319:                              ;   in Loop: Header=BB1_285 Depth=1
	v_mov_b32_e32 v19, 0
	s_mov_b64 s[16:17], 0
	v_mov_b32_e32 v20, 0
	s_mov_b64 s[18:19], 0
	s_mov_b64 s[20:21], 0
.LBB1_320:                              ;   Parent Loop BB1_285 Depth=1
                                        ; =>  This Inner Loop Header: Depth=2
	v_mov_b32_e32 v21, s21
	v_add_co_u32_e32 v23, vcc, s20, v9
	v_addc_co_u32_e32 v24, vcc, v10, v21, vcc
	global_load_ubyte v21, v[23:24], off
	s_add_u32 s20, s20, 1
	v_mov_b32_e32 v24, s22
	s_addc_u32 s21, s21, 0
	v_cmp_eq_u32_e32 vcc, s20, v22
	s_waitcnt vmcnt(0)
	v_and_b32_e32 v23, 0xffff, v21
	v_lshlrev_b64 v[23:24], s18, v[23:24]
	s_add_u32 s18, s18, 8
	s_addc_u32 s19, s19, 0
	v_or_b32_e32 v20, v24, v20
	s_or_b64 s[16:17], vcc, s[16:17]
	v_or_b32_e32 v19, v23, v19
	s_andn2_b64 exec, exec, s[16:17]
	s_cbranch_execnz .LBB1_320
; %bb.321:                              ;   in Loop: Header=BB1_285 Depth=1
	s_or_b64 exec, exec, s[16:17]
.LBB1_322:                              ;   in Loop: Header=BB1_285 Depth=1
	s_or_b64 exec, exec, s[14:15]
	v_mov_b32_e32 v24, v10
	v_mov_b32_e32 v23, v9
                                        ; implicit-def: $vgpr22
.LBB1_323:                              ;   in Loop: Header=BB1_285 Depth=1
	s_or_saveexec_b64 s[4:5], s[4:5]
	v_mov_b32_e32 v25, 0
	s_xor_b64 exec, exec, s[4:5]
	s_cbranch_execz .LBB1_325
; %bb.324:                              ;   in Loop: Header=BB1_285 Depth=1
	global_load_dwordx2 v[19:20], v[9:10], off
	v_add_u32_e32 v25, -8, v22
.LBB1_325:                              ;   in Loop: Header=BB1_285 Depth=1
	s_or_b64 exec, exec, s[4:5]
	v_add_co_u32_e64 v9, s[4:5], 8, v23
	v_cmp_gt_u32_e32 vcc, 8, v25
	v_addc_co_u32_e64 v10, s[4:5], 0, v24, s[4:5]
                                        ; implicit-def: $vgpr21_vgpr22
	s_and_saveexec_b64 s[4:5], vcc
	s_xor_b64 s[4:5], exec, s[4:5]
	s_cbranch_execz .LBB1_331
; %bb.326:                              ;   in Loop: Header=BB1_285 Depth=1
	v_mov_b32_e32 v21, 0
	v_mov_b32_e32 v22, 0
	v_cmp_ne_u32_e32 vcc, 0, v25
	s_and_saveexec_b64 s[14:15], vcc
	s_cbranch_execz .LBB1_330
; %bb.327:                              ;   in Loop: Header=BB1_285 Depth=1
	v_mov_b32_e32 v21, 0
	s_mov_b64 s[16:17], 0
	v_mov_b32_e32 v22, 0
	s_mov_b64 s[18:19], 0
	s_mov_b64 s[20:21], 0
.LBB1_328:                              ;   Parent Loop BB1_285 Depth=1
                                        ; =>  This Inner Loop Header: Depth=2
	v_mov_b32_e32 v10, s21
	v_add_co_u32_e32 v9, vcc, s20, v23
	v_addc_co_u32_e32 v10, vcc, v24, v10, vcc
	global_load_ubyte v9, v[9:10], off
	s_add_u32 s20, s20, 1
	v_mov_b32_e32 v10, s22
	s_addc_u32 s21, s21, 0
	v_cmp_eq_u32_e32 vcc, s20, v25
	s_waitcnt vmcnt(0)
	v_and_b32_e32 v9, 0xffff, v9
	v_lshlrev_b64 v[9:10], s18, v[9:10]
	s_add_u32 s18, s18, 8
	s_addc_u32 s19, s19, 0
	v_or_b32_e32 v22, v10, v22
	s_or_b64 s[16:17], vcc, s[16:17]
	v_or_b32_e32 v21, v9, v21
	s_andn2_b64 exec, exec, s[16:17]
	s_cbranch_execnz .LBB1_328
; %bb.329:                              ;   in Loop: Header=BB1_285 Depth=1
	s_or_b64 exec, exec, s[16:17]
.LBB1_330:                              ;   in Loop: Header=BB1_285 Depth=1
	s_or_b64 exec, exec, s[14:15]
	v_mov_b32_e32 v9, v23
	v_mov_b32_e32 v10, v24
                                        ; implicit-def: $vgpr25
.LBB1_331:                              ;   in Loop: Header=BB1_285 Depth=1
	s_or_saveexec_b64 s[4:5], s[4:5]
	v_mov_b32_e32 v26, 0
	s_xor_b64 exec, exec, s[4:5]
	s_cbranch_execz .LBB1_333
; %bb.332:                              ;   in Loop: Header=BB1_285 Depth=1
	global_load_dwordx2 v[21:22], v[23:24], off
	v_add_u32_e32 v26, -8, v25
.LBB1_333:                              ;   in Loop: Header=BB1_285 Depth=1
	s_or_b64 exec, exec, s[4:5]
	v_cmp_gt_u32_e32 vcc, 8, v26
	s_and_saveexec_b64 s[4:5], vcc
	s_xor_b64 s[4:5], exec, s[4:5]
	s_cbranch_execz .LBB1_339
; %bb.334:                              ;   in Loop: Header=BB1_285 Depth=1
	v_mov_b32_e32 v23, 0
	v_mov_b32_e32 v24, 0
	v_cmp_ne_u32_e32 vcc, 0, v26
	s_and_saveexec_b64 s[14:15], vcc
	s_cbranch_execz .LBB1_338
; %bb.335:                              ;   in Loop: Header=BB1_285 Depth=1
	v_mov_b32_e32 v23, 0
	s_mov_b64 s[16:17], 0
	v_mov_b32_e32 v24, 0
	s_mov_b64 s[18:19], 0
.LBB1_336:                              ;   Parent Loop BB1_285 Depth=1
                                        ; =>  This Inner Loop Header: Depth=2
	global_load_ubyte v25, v[9:10], off
	v_mov_b32_e32 v28, s22
	v_add_co_u32_e32 v9, vcc, 1, v9
	v_add_u32_e32 v26, -1, v26
	v_addc_co_u32_e32 v10, vcc, 0, v10, vcc
	v_cmp_eq_u32_e32 vcc, 0, v26
	s_waitcnt vmcnt(0)
	v_and_b32_e32 v27, 0xffff, v25
	v_lshlrev_b64 v[27:28], s18, v[27:28]
	s_add_u32 s18, s18, 8
	s_addc_u32 s19, s19, 0
	v_or_b32_e32 v24, v28, v24
	s_or_b64 s[16:17], vcc, s[16:17]
	v_or_b32_e32 v23, v27, v23
	s_andn2_b64 exec, exec, s[16:17]
	s_cbranch_execnz .LBB1_336
; %bb.337:                              ;   in Loop: Header=BB1_285 Depth=1
	s_or_b64 exec, exec, s[16:17]
.LBB1_338:                              ;   in Loop: Header=BB1_285 Depth=1
	s_or_b64 exec, exec, s[14:15]
                                        ; implicit-def: $vgpr9_vgpr10
.LBB1_339:                              ;   in Loop: Header=BB1_285 Depth=1
	s_andn2_saveexec_b64 s[4:5], s[4:5]
	s_cbranch_execz .LBB1_341
; %bb.340:                              ;   in Loop: Header=BB1_285 Depth=1
	global_load_dwordx2 v[23:24], v[9:10], off
.LBB1_341:                              ;   in Loop: Header=BB1_285 Depth=1
	s_or_b64 exec, exec, s[4:5]
	v_readfirstlane_b32 s4, v38
	v_mov_b32_e32 v9, 0
	v_mov_b32_e32 v10, 0
	v_cmp_eq_u32_e64 s[4:5], s4, v38
	s_and_saveexec_b64 s[14:15], s[4:5]
	s_cbranch_execz .LBB1_347
; %bb.342:                              ;   in Loop: Header=BB1_285 Depth=1
	global_load_dwordx2 v[27:28], v4, s[10:11] offset:24 glc
	s_waitcnt vmcnt(0)
	buffer_wbinvl1_vol
	global_load_dwordx2 v[9:10], v4, s[10:11] offset:40
	global_load_dwordx2 v[25:26], v4, s[10:11]
	s_waitcnt vmcnt(1)
	v_and_b32_e32 v9, v9, v27
	v_and_b32_e32 v10, v10, v28
	v_mul_lo_u32 v10, v10, 24
	v_mul_hi_u32 v33, v9, 24
	v_mul_lo_u32 v9, v9, 24
	v_add_u32_e32 v10, v33, v10
	s_waitcnt vmcnt(0)
	v_add_co_u32_e32 v9, vcc, v25, v9
	v_addc_co_u32_e32 v10, vcc, v26, v10, vcc
	global_load_dwordx2 v[25:26], v[9:10], off glc
	s_waitcnt vmcnt(0)
	global_atomic_cmpswap_x2 v[9:10], v4, v[25:28], s[10:11] offset:24 glc
	s_waitcnt vmcnt(0)
	buffer_wbinvl1_vol
	v_cmp_ne_u64_e32 vcc, v[9:10], v[27:28]
	s_and_saveexec_b64 s[16:17], vcc
	s_cbranch_execz .LBB1_346
; %bb.343:                              ;   in Loop: Header=BB1_285 Depth=1
	s_mov_b64 s[18:19], 0
.LBB1_344:                              ;   Parent Loop BB1_285 Depth=1
                                        ; =>  This Inner Loop Header: Depth=2
	s_sleep 1
	global_load_dwordx2 v[25:26], v4, s[10:11] offset:40
	global_load_dwordx2 v[33:34], v4, s[10:11]
	v_mov_b32_e32 v28, v10
	v_mov_b32_e32 v27, v9
	s_waitcnt vmcnt(1)
	v_and_b32_e32 v9, v25, v27
	s_waitcnt vmcnt(0)
	v_mad_u64_u32 v[9:10], s[20:21], v9, 24, v[33:34]
	v_and_b32_e32 v25, v26, v28
	v_mad_u64_u32 v[25:26], s[20:21], v25, 24, v[10:11]
	v_mov_b32_e32 v10, v25
	global_load_dwordx2 v[25:26], v[9:10], off glc
	s_waitcnt vmcnt(0)
	global_atomic_cmpswap_x2 v[9:10], v4, v[25:28], s[10:11] offset:24 glc
	s_waitcnt vmcnt(0)
	buffer_wbinvl1_vol
	v_cmp_eq_u64_e32 vcc, v[9:10], v[27:28]
	s_or_b64 s[18:19], vcc, s[18:19]
	s_andn2_b64 exec, exec, s[18:19]
	s_cbranch_execnz .LBB1_344
; %bb.345:                              ;   in Loop: Header=BB1_285 Depth=1
	s_or_b64 exec, exec, s[18:19]
.LBB1_346:                              ;   in Loop: Header=BB1_285 Depth=1
	s_or_b64 exec, exec, s[16:17]
.LBB1_347:                              ;   in Loop: Header=BB1_285 Depth=1
	s_or_b64 exec, exec, s[14:15]
	global_load_dwordx2 v[33:34], v4, s[10:11] offset:40
	global_load_dwordx4 v[25:28], v4, s[10:11]
	v_readfirstlane_b32 s15, v10
	v_readfirstlane_b32 s14, v9
	s_mov_b64 s[16:17], exec
	s_waitcnt vmcnt(1)
	v_readfirstlane_b32 s18, v33
	v_readfirstlane_b32 s19, v34
	s_and_b64 s[18:19], s[18:19], s[14:15]
	s_mul_i32 s20, s19, 24
	s_mul_hi_u32 s21, s18, 24
	s_mul_i32 s24, s18, 24
	s_add_i32 s20, s21, s20
	v_mov_b32_e32 v9, s20
	s_waitcnt vmcnt(0)
	v_add_co_u32_e32 v33, vcc, s24, v25
	v_addc_co_u32_e32 v34, vcc, v26, v9, vcc
	s_and_saveexec_b64 s[20:21], s[4:5]
	s_cbranch_execz .LBB1_349
; %bb.348:                              ;   in Loop: Header=BB1_285 Depth=1
	v_mov_b32_e32 v9, s16
	v_mov_b32_e32 v10, s17
	global_store_dwordx4 v[33:34], v[9:12], off offset:8
.LBB1_349:                              ;   in Loop: Header=BB1_285 Depth=1
	s_or_b64 exec, exec, s[20:21]
	s_lshl_b64 s[16:17], s[18:19], 12
	v_mov_b32_e32 v9, s17
	v_add_co_u32_e32 v27, vcc, s16, v27
	v_addc_co_u32_e32 v28, vcc, v28, v9, vcc
	v_cmp_gt_u64_e32 vcc, 57, v[29:30]
	v_and_b32_e32 v0, 0xffffff1f, v0
	v_cndmask_b32_e32 v9, 0, v35, vcc
	v_lshl_add_u32 v10, v31, 2, 28
	v_or_b32_e32 v0, v0, v9
	v_and_or_b32 v0, v10, s23, v0
	v_readfirstlane_b32 s16, v27
	v_readfirstlane_b32 s17, v28
	s_nop 4
	global_store_dwordx4 v39, v[0:3], s[16:17]
	global_store_dwordx4 v39, v[13:16], s[16:17] offset:16
	global_store_dwordx4 v39, v[17:20], s[16:17] offset:32
	;; [unrolled: 1-line block ×3, first 2 shown]
	s_and_saveexec_b64 s[16:17], s[4:5]
	s_cbranch_execz .LBB1_357
; %bb.350:                              ;   in Loop: Header=BB1_285 Depth=1
	global_load_dwordx2 v[15:16], v4, s[10:11] offset:32 glc
	global_load_dwordx2 v[0:1], v4, s[10:11] offset:40
	v_mov_b32_e32 v13, s14
	v_mov_b32_e32 v14, s15
	s_waitcnt vmcnt(0)
	v_readfirstlane_b32 s18, v0
	v_readfirstlane_b32 s19, v1
	s_and_b64 s[18:19], s[18:19], s[14:15]
	s_mul_i32 s19, s19, 24
	s_mul_hi_u32 s20, s18, 24
	s_mul_i32 s18, s18, 24
	s_add_i32 s19, s20, s19
	v_mov_b32_e32 v0, s19
	v_add_co_u32_e32 v9, vcc, s18, v25
	v_addc_co_u32_e32 v10, vcc, v26, v0, vcc
	global_store_dwordx2 v[9:10], v[15:16], off
	s_waitcnt vmcnt(0)
	global_atomic_cmpswap_x2 v[2:3], v4, v[13:16], s[10:11] offset:32 glc
	s_waitcnt vmcnt(0)
	v_cmp_ne_u64_e32 vcc, v[2:3], v[15:16]
	s_and_saveexec_b64 s[18:19], vcc
	s_cbranch_execz .LBB1_353
; %bb.351:                              ;   in Loop: Header=BB1_285 Depth=1
	s_mov_b64 s[20:21], 0
.LBB1_352:                              ;   Parent Loop BB1_285 Depth=1
                                        ; =>  This Inner Loop Header: Depth=2
	s_sleep 1
	global_store_dwordx2 v[9:10], v[2:3], off
	v_mov_b32_e32 v0, s14
	v_mov_b32_e32 v1, s15
	s_waitcnt vmcnt(0)
	global_atomic_cmpswap_x2 v[0:1], v4, v[0:3], s[10:11] offset:32 glc
	s_waitcnt vmcnt(0)
	v_cmp_eq_u64_e32 vcc, v[0:1], v[2:3]
	v_mov_b32_e32 v3, v1
	s_or_b64 s[20:21], vcc, s[20:21]
	v_mov_b32_e32 v2, v0
	s_andn2_b64 exec, exec, s[20:21]
	s_cbranch_execnz .LBB1_352
.LBB1_353:                              ;   in Loop: Header=BB1_285 Depth=1
	s_or_b64 exec, exec, s[18:19]
	global_load_dwordx2 v[0:1], v4, s[10:11] offset:16
	s_mov_b64 s[20:21], exec
	v_mbcnt_lo_u32_b32 v2, s20, 0
	v_mbcnt_hi_u32_b32 v2, s21, v2
	v_cmp_eq_u32_e32 vcc, 0, v2
	s_and_saveexec_b64 s[18:19], vcc
	s_cbranch_execz .LBB1_355
; %bb.354:                              ;   in Loop: Header=BB1_285 Depth=1
	s_bcnt1_i32_b64 s20, s[20:21]
	v_mov_b32_e32 v3, s20
	s_waitcnt vmcnt(0)
	global_atomic_add_x2 v[0:1], v[3:4], off offset:8
.LBB1_355:                              ;   in Loop: Header=BB1_285 Depth=1
	s_or_b64 exec, exec, s[18:19]
	s_waitcnt vmcnt(0)
	global_load_dwordx2 v[9:10], v[0:1], off offset:16
	s_waitcnt vmcnt(0)
	v_cmp_eq_u64_e32 vcc, 0, v[9:10]
	s_cbranch_vccnz .LBB1_357
; %bb.356:                              ;   in Loop: Header=BB1_285 Depth=1
	global_load_dword v3, v[0:1], off offset:24
	s_waitcnt vmcnt(0)
	v_readfirstlane_b32 s18, v3
	s_and_b32 m0, s18, 0xffffff
	global_store_dwordx2 v[9:10], v[3:4], off
	s_sendmsg sendmsg(MSG_INTERRUPT)
.LBB1_357:                              ;   in Loop: Header=BB1_285 Depth=1
	s_or_b64 exec, exec, s[16:17]
	v_add_co_u32_e32 v0, vcc, v27, v39
	v_addc_co_u32_e32 v1, vcc, 0, v28, vcc
	s_branch .LBB1_361
.LBB1_358:                              ;   in Loop: Header=BB1_361 Depth=2
	s_or_b64 exec, exec, s[16:17]
	v_readfirstlane_b32 s16, v2
	s_cmp_eq_u32 s16, 0
	s_cbranch_scc1 .LBB1_360
; %bb.359:                              ;   in Loop: Header=BB1_361 Depth=2
	s_sleep 1
	s_cbranch_execnz .LBB1_361
	s_branch .LBB1_363
.LBB1_360:                              ;   in Loop: Header=BB1_285 Depth=1
	s_branch .LBB1_363
.LBB1_361:                              ;   Parent Loop BB1_285 Depth=1
                                        ; =>  This Inner Loop Header: Depth=2
	v_mov_b32_e32 v2, 1
	s_and_saveexec_b64 s[16:17], s[4:5]
	s_cbranch_execz .LBB1_358
; %bb.362:                              ;   in Loop: Header=BB1_361 Depth=2
	global_load_dword v2, v[33:34], off offset:20 glc
	s_waitcnt vmcnt(0)
	buffer_wbinvl1_vol
	v_and_b32_e32 v2, 1, v2
	s_branch .LBB1_358
.LBB1_363:                              ;   in Loop: Header=BB1_285 Depth=1
	global_load_dwordx2 v[0:1], v[0:1], off
	s_and_saveexec_b64 s[16:17], s[4:5]
	s_cbranch_execz .LBB1_284
; %bb.364:                              ;   in Loop: Header=BB1_285 Depth=1
	global_load_dwordx2 v[2:3], v4, s[10:11] offset:40
	global_load_dwordx2 v[17:18], v4, s[10:11] offset:24 glc
	global_load_dwordx2 v[9:10], v4, s[10:11]
	s_waitcnt vmcnt(2)
	v_readfirstlane_b32 s18, v2
	v_readfirstlane_b32 s19, v3
	s_add_u32 s20, s18, 1
	s_addc_u32 s21, s19, 0
	s_add_u32 s4, s20, s14
	s_addc_u32 s5, s21, s15
	s_cmp_eq_u64 s[4:5], 0
	s_cselect_b32 s5, s21, s5
	s_cselect_b32 s4, s20, s4
	s_and_b64 s[14:15], s[4:5], s[18:19]
	s_mul_i32 s15, s15, 24
	s_mul_hi_u32 s18, s14, 24
	s_mul_i32 s14, s14, 24
	s_add_i32 s15, s18, s15
	v_mov_b32_e32 v3, s15
	s_waitcnt vmcnt(0)
	v_add_co_u32_e32 v2, vcc, s14, v9
	v_addc_co_u32_e32 v3, vcc, v10, v3, vcc
	v_mov_b32_e32 v15, s4
	global_store_dwordx2 v[2:3], v[17:18], off
	v_mov_b32_e32 v16, s5
	s_waitcnt vmcnt(0)
	global_atomic_cmpswap_x2 v[15:16], v4, v[15:18], s[10:11] offset:24 glc
	s_waitcnt vmcnt(0)
	v_cmp_ne_u64_e32 vcc, v[15:16], v[17:18]
	s_and_b64 exec, exec, vcc
	s_cbranch_execz .LBB1_284
; %bb.365:                              ;   in Loop: Header=BB1_285 Depth=1
	s_mov_b64 s[14:15], 0
.LBB1_366:                              ;   Parent Loop BB1_285 Depth=1
                                        ; =>  This Inner Loop Header: Depth=2
	s_sleep 1
	global_store_dwordx2 v[2:3], v[15:16], off
	v_mov_b32_e32 v13, s4
	v_mov_b32_e32 v14, s5
	s_waitcnt vmcnt(0)
	global_atomic_cmpswap_x2 v[9:10], v4, v[13:16], s[10:11] offset:24 glc
	s_waitcnt vmcnt(0)
	v_cmp_eq_u64_e32 vcc, v[9:10], v[15:16]
	v_mov_b32_e32 v16, v10
	s_or_b64 s[14:15], vcc, s[14:15]
	v_mov_b32_e32 v15, v9
	s_andn2_b64 exec, exec, s[14:15]
	s_cbranch_execnz .LBB1_366
	s_branch .LBB1_284
.LBB1_367:
	s_or_b64 exec, exec, s[12:13]
                                        ; implicit-def: $vgpr39
                                        ; implicit-def: $vgpr38
.LBB1_368:
	s_andn2_saveexec_b64 s[6:7], s[6:7]
	s_cbranch_execz .LBB1_395
; %bb.369:
	v_readfirstlane_b32 s4, v38
	v_mov_b32_e32 v3, 0
	v_mov_b32_e32 v4, 0
	v_cmp_eq_u32_e64 s[4:5], s4, v38
	s_and_saveexec_b64 s[12:13], s[4:5]
	s_cbranch_execz .LBB1_375
; %bb.370:
	v_mov_b32_e32 v2, 0
	global_load_dwordx2 v[5:6], v2, s[10:11] offset:24 glc
	s_waitcnt vmcnt(0)
	buffer_wbinvl1_vol
	global_load_dwordx2 v[3:4], v2, s[10:11] offset:40
	global_load_dwordx2 v[9:10], v2, s[10:11]
	s_waitcnt vmcnt(1)
	v_and_b32_e32 v3, v3, v5
	v_and_b32_e32 v4, v4, v6
	v_mul_lo_u32 v4, v4, 24
	v_mul_hi_u32 v11, v3, 24
	v_mul_lo_u32 v3, v3, 24
	v_add_u32_e32 v4, v11, v4
	s_waitcnt vmcnt(0)
	v_add_co_u32_e32 v3, vcc, v9, v3
	v_addc_co_u32_e32 v4, vcc, v10, v4, vcc
	global_load_dwordx2 v[3:4], v[3:4], off glc
	s_waitcnt vmcnt(0)
	global_atomic_cmpswap_x2 v[3:4], v2, v[3:6], s[10:11] offset:24 glc
	s_waitcnt vmcnt(0)
	buffer_wbinvl1_vol
	v_cmp_ne_u64_e32 vcc, v[3:4], v[5:6]
	s_and_saveexec_b64 s[14:15], vcc
	s_cbranch_execz .LBB1_374
; %bb.371:
	s_mov_b64 s[16:17], 0
.LBB1_372:                              ; =>This Inner Loop Header: Depth=1
	s_sleep 1
	global_load_dwordx2 v[9:10], v2, s[10:11] offset:40
	global_load_dwordx2 v[11:12], v2, s[10:11]
	v_mov_b32_e32 v6, v4
	v_mov_b32_e32 v5, v3
	s_waitcnt vmcnt(1)
	v_and_b32_e32 v3, v9, v5
	s_waitcnt vmcnt(0)
	v_mad_u64_u32 v[3:4], s[18:19], v3, 24, v[11:12]
	v_and_b32_e32 v9, v10, v6
	v_mad_u64_u32 v[9:10], s[18:19], v9, 24, v[4:5]
	v_mov_b32_e32 v4, v9
	global_load_dwordx2 v[3:4], v[3:4], off glc
	s_waitcnt vmcnt(0)
	global_atomic_cmpswap_x2 v[3:4], v2, v[3:6], s[10:11] offset:24 glc
	s_waitcnt vmcnt(0)
	buffer_wbinvl1_vol
	v_cmp_eq_u64_e32 vcc, v[3:4], v[5:6]
	s_or_b64 s[16:17], vcc, s[16:17]
	s_andn2_b64 exec, exec, s[16:17]
	s_cbranch_execnz .LBB1_372
; %bb.373:
	s_or_b64 exec, exec, s[16:17]
.LBB1_374:
	s_or_b64 exec, exec, s[14:15]
.LBB1_375:
	s_or_b64 exec, exec, s[12:13]
	v_mov_b32_e32 v2, 0
	global_load_dwordx2 v[5:6], v2, s[10:11] offset:40
	global_load_dwordx4 v[9:12], v2, s[10:11]
	v_readfirstlane_b32 s13, v4
	v_readfirstlane_b32 s12, v3
	s_mov_b64 s[14:15], exec
	s_waitcnt vmcnt(1)
	v_readfirstlane_b32 s16, v5
	v_readfirstlane_b32 s17, v6
	s_and_b64 s[16:17], s[16:17], s[12:13]
	s_mul_i32 s18, s17, 24
	s_mul_hi_u32 s19, s16, 24
	s_mul_i32 s20, s16, 24
	s_add_i32 s18, s19, s18
	v_mov_b32_e32 v3, s18
	s_waitcnt vmcnt(0)
	v_add_co_u32_e32 v4, vcc, s20, v9
	v_addc_co_u32_e32 v5, vcc, v10, v3, vcc
	s_and_saveexec_b64 s[18:19], s[4:5]
	s_cbranch_execz .LBB1_377
; %bb.376:
	v_mov_b32_e32 v13, s14
	v_mov_b32_e32 v14, s15
	;; [unrolled: 1-line block ×4, first 2 shown]
	global_store_dwordx4 v[4:5], v[13:16], off offset:8
.LBB1_377:
	s_or_b64 exec, exec, s[18:19]
	s_lshl_b64 s[14:15], s[16:17], 12
	v_mov_b32_e32 v3, s15
	v_add_co_u32_e32 v6, vcc, s14, v11
	v_addc_co_u32_e32 v13, vcc, v12, v3, vcc
	s_movk_i32 s14, 0xff1f
	v_and_or_b32 v0, v0, s14, 32
	s_mov_b32 s16, 0
	v_mov_b32_e32 v3, v2
	v_readfirstlane_b32 s14, v6
	v_readfirstlane_b32 s15, v13
	v_add_co_u32_e32 v11, vcc, v6, v39
	s_mov_b32 s17, s16
	s_mov_b32 s18, s16
	;; [unrolled: 1-line block ×3, first 2 shown]
	s_nop 0
	global_store_dwordx4 v39, v[0:3], s[14:15]
	v_addc_co_u32_e32 v12, vcc, 0, v13, vcc
	v_mov_b32_e32 v0, s16
	v_mov_b32_e32 v1, s17
	v_mov_b32_e32 v2, s18
	v_mov_b32_e32 v3, s19
	global_store_dwordx4 v39, v[0:3], s[14:15] offset:16
	global_store_dwordx4 v39, v[0:3], s[14:15] offset:32
	;; [unrolled: 1-line block ×3, first 2 shown]
	s_and_saveexec_b64 s[14:15], s[4:5]
	s_cbranch_execz .LBB1_385
; %bb.378:
	v_mov_b32_e32 v6, 0
	global_load_dwordx2 v[15:16], v6, s[10:11] offset:32 glc
	global_load_dwordx2 v[0:1], v6, s[10:11] offset:40
	v_mov_b32_e32 v13, s12
	v_mov_b32_e32 v14, s13
	s_waitcnt vmcnt(0)
	v_readfirstlane_b32 s16, v0
	v_readfirstlane_b32 s17, v1
	s_and_b64 s[16:17], s[16:17], s[12:13]
	s_mul_i32 s17, s17, 24
	s_mul_hi_u32 s18, s16, 24
	s_mul_i32 s16, s16, 24
	s_add_i32 s17, s18, s17
	v_mov_b32_e32 v0, s17
	v_add_co_u32_e32 v9, vcc, s16, v9
	v_addc_co_u32_e32 v10, vcc, v10, v0, vcc
	global_store_dwordx2 v[9:10], v[15:16], off
	s_waitcnt vmcnt(0)
	global_atomic_cmpswap_x2 v[2:3], v6, v[13:16], s[10:11] offset:32 glc
	s_waitcnt vmcnt(0)
	v_cmp_ne_u64_e32 vcc, v[2:3], v[15:16]
	s_and_saveexec_b64 s[16:17], vcc
	s_cbranch_execz .LBB1_381
; %bb.379:
	s_mov_b64 s[18:19], 0
.LBB1_380:                              ; =>This Inner Loop Header: Depth=1
	s_sleep 1
	global_store_dwordx2 v[9:10], v[2:3], off
	v_mov_b32_e32 v0, s12
	v_mov_b32_e32 v1, s13
	s_waitcnt vmcnt(0)
	global_atomic_cmpswap_x2 v[0:1], v6, v[0:3], s[10:11] offset:32 glc
	s_waitcnt vmcnt(0)
	v_cmp_eq_u64_e32 vcc, v[0:1], v[2:3]
	v_mov_b32_e32 v3, v1
	s_or_b64 s[18:19], vcc, s[18:19]
	v_mov_b32_e32 v2, v0
	s_andn2_b64 exec, exec, s[18:19]
	s_cbranch_execnz .LBB1_380
.LBB1_381:
	s_or_b64 exec, exec, s[16:17]
	v_mov_b32_e32 v3, 0
	global_load_dwordx2 v[0:1], v3, s[10:11] offset:16
	s_mov_b64 s[16:17], exec
	v_mbcnt_lo_u32_b32 v2, s16, 0
	v_mbcnt_hi_u32_b32 v2, s17, v2
	v_cmp_eq_u32_e32 vcc, 0, v2
	s_and_saveexec_b64 s[18:19], vcc
	s_cbranch_execz .LBB1_383
; %bb.382:
	s_bcnt1_i32_b64 s16, s[16:17]
	v_mov_b32_e32 v2, s16
	s_waitcnt vmcnt(0)
	global_atomic_add_x2 v[0:1], v[2:3], off offset:8
.LBB1_383:
	s_or_b64 exec, exec, s[18:19]
	s_waitcnt vmcnt(0)
	global_load_dwordx2 v[2:3], v[0:1], off offset:16
	s_waitcnt vmcnt(0)
	v_cmp_eq_u64_e32 vcc, 0, v[2:3]
	s_cbranch_vccnz .LBB1_385
; %bb.384:
	global_load_dword v0, v[0:1], off offset:24
	v_mov_b32_e32 v1, 0
	s_waitcnt vmcnt(0)
	v_readfirstlane_b32 s16, v0
	s_and_b32 m0, s16, 0xffffff
	global_store_dwordx2 v[2:3], v[0:1], off
	s_sendmsg sendmsg(MSG_INTERRUPT)
.LBB1_385:
	s_or_b64 exec, exec, s[14:15]
	s_branch .LBB1_389
.LBB1_386:                              ;   in Loop: Header=BB1_389 Depth=1
	s_or_b64 exec, exec, s[14:15]
	v_readfirstlane_b32 s14, v0
	s_cmp_eq_u32 s14, 0
	s_cbranch_scc1 .LBB1_388
; %bb.387:                              ;   in Loop: Header=BB1_389 Depth=1
	s_sleep 1
	s_cbranch_execnz .LBB1_389
	s_branch .LBB1_391
.LBB1_388:
	s_branch .LBB1_391
.LBB1_389:                              ; =>This Inner Loop Header: Depth=1
	v_mov_b32_e32 v0, 1
	s_and_saveexec_b64 s[14:15], s[4:5]
	s_cbranch_execz .LBB1_386
; %bb.390:                              ;   in Loop: Header=BB1_389 Depth=1
	global_load_dword v0, v[4:5], off offset:20 glc
	s_waitcnt vmcnt(0)
	buffer_wbinvl1_vol
	v_and_b32_e32 v0, 1, v0
	s_branch .LBB1_386
.LBB1_391:
	global_load_dwordx2 v[0:1], v[11:12], off
	s_and_saveexec_b64 s[14:15], s[4:5]
	s_cbranch_execz .LBB1_394
; %bb.392:
	v_mov_b32_e32 v6, 0
	global_load_dwordx2 v[2:3], v6, s[10:11] offset:40
	global_load_dwordx2 v[13:14], v6, s[10:11] offset:24 glc
	global_load_dwordx2 v[4:5], v6, s[10:11]
	s_waitcnt vmcnt(2)
	v_readfirstlane_b32 s16, v2
	v_readfirstlane_b32 s17, v3
	s_add_u32 s18, s16, 1
	s_addc_u32 s19, s17, 0
	s_add_u32 s4, s18, s12
	s_addc_u32 s5, s19, s13
	s_cmp_eq_u64 s[4:5], 0
	s_cselect_b32 s5, s19, s5
	s_cselect_b32 s4, s18, s4
	s_and_b64 s[12:13], s[4:5], s[16:17]
	s_mul_i32 s13, s13, 24
	s_mul_hi_u32 s16, s12, 24
	s_mul_i32 s12, s12, 24
	s_add_i32 s13, s16, s13
	v_mov_b32_e32 v2, s13
	s_waitcnt vmcnt(0)
	v_add_co_u32_e32 v9, vcc, s12, v4
	v_addc_co_u32_e32 v10, vcc, v5, v2, vcc
	v_mov_b32_e32 v11, s4
	global_store_dwordx2 v[9:10], v[13:14], off
	v_mov_b32_e32 v12, s5
	s_waitcnt vmcnt(0)
	global_atomic_cmpswap_x2 v[4:5], v6, v[11:14], s[10:11] offset:24 glc
	s_mov_b64 s[12:13], 0
	s_waitcnt vmcnt(0)
	v_cmp_ne_u64_e32 vcc, v[4:5], v[13:14]
	s_and_b64 exec, exec, vcc
	s_cbranch_execz .LBB1_394
.LBB1_393:                              ; =>This Inner Loop Header: Depth=1
	s_sleep 1
	global_store_dwordx2 v[9:10], v[4:5], off
	v_mov_b32_e32 v2, s4
	v_mov_b32_e32 v3, s5
	s_waitcnt vmcnt(0)
	global_atomic_cmpswap_x2 v[2:3], v6, v[2:5], s[10:11] offset:24 glc
	s_waitcnt vmcnt(0)
	v_cmp_eq_u64_e32 vcc, v[2:3], v[4:5]
	v_mov_b32_e32 v5, v3
	s_or_b64 s[12:13], vcc, s[12:13]
	v_mov_b32_e32 v4, v2
	s_andn2_b64 exec, exec, s[12:13]
	s_cbranch_execnz .LBB1_393
.LBB1_394:
	s_or_b64 exec, exec, s[14:15]
.LBB1_395:
	s_or_b64 exec, exec, s[6:7]
	v_mov_b32_e32 v2, v7
	s_mov_b64 s[4:5], 0
	v_mov_b32_e32 v3, v8
.LBB1_396:                              ; =>This Inner Loop Header: Depth=1
	global_load_ubyte v6, v[2:3], off
	v_add_co_u32_e32 v4, vcc, 1, v2
	v_addc_co_u32_e32 v5, vcc, 0, v3, vcc
	v_mov_b32_e32 v2, v4
	v_mov_b32_e32 v3, v5
	s_waitcnt vmcnt(0)
	v_cmp_eq_u16_e32 vcc, 0, v6
	s_or_b64 s[4:5], vcc, s[4:5]
	s_andn2_b64 exec, exec, s[4:5]
	s_cbranch_execnz .LBB1_396
; %bb.397:
	s_or_b64 exec, exec, s[4:5]
	v_sub_u32_e32 v4, v4, v7
	v_ashrrev_i32_e32 v5, 31, v4
	s_getpc_b64 s[4:5]
	s_add_u32 s4, s4, __ockl_fprintf_append_string_n@rel32@lo+4
	s_addc_u32 s5, s5, __ockl_fprintf_append_string_n@rel32@hi+12
	v_mov_b32_e32 v2, v7
	v_mov_b32_e32 v3, v8
	;; [unrolled: 1-line block ×3, first 2 shown]
	s_swappc_b64 s[30:31], s[4:5]
	s_trap 2
.Lfunc_end1:
	.size	__assert_fail, .Lfunc_end1-__assert_fail
                                        ; -- End function
	.set .L__assert_fail.num_vgpr, max(53, .L__ockl_fprintf_append_string_n.num_vgpr)
	.set .L__assert_fail.num_agpr, max(0, .L__ockl_fprintf_append_string_n.num_agpr)
	.set .L__assert_fail.numbered_sgpr, max(34, .L__ockl_fprintf_append_string_n.numbered_sgpr)
	.set .L__assert_fail.num_named_barrier, max(0, .L__ockl_fprintf_append_string_n.num_named_barrier)
	.set .L__assert_fail.private_seg_size, 64+max(.L__ockl_fprintf_append_string_n.private_seg_size)
	.set .L__assert_fail.uses_vcc, or(1, .L__ockl_fprintf_append_string_n.uses_vcc)
	.set .L__assert_fail.uses_flat_scratch, or(0, .L__ockl_fprintf_append_string_n.uses_flat_scratch)
	.set .L__assert_fail.has_dyn_sized_stack, or(0, .L__ockl_fprintf_append_string_n.has_dyn_sized_stack)
	.set .L__assert_fail.has_recursion, or(0, .L__ockl_fprintf_append_string_n.has_recursion)
	.set .L__assert_fail.has_indirect_call, or(0, .L__ockl_fprintf_append_string_n.has_indirect_call)
	.section	.AMDGPU.csdata,"",@progbits
; Function info:
; codeLenInByte = 14196
; TotalNumSgprs: 38
; NumVgprs: 53
; ScratchSize: 64
; MemoryBound: 0
	.text
	.p2align	2                               ; -- Begin function _ZN3sop14minatoIsop5RecEjjiPNS_3SopEP7VecsMemIjLi8192EE
	.type	_ZN3sop14minatoIsop5RecEjjiPNS_3SopEP7VecsMemIjLi8192EE,@function
_ZN3sop14minatoIsop5RecEjjiPNS_3SopEP7VecsMemIjLi8192EE: ; @_ZN3sop14minatoIsop5RecEjjiPNS_3SopEP7VecsMemIjLi8192EE
; %bb.0:
	s_waitcnt vmcnt(0) expcnt(0) lgkmcnt(0)
	s_mov_b32 s4, s33
	s_mov_b32 s33, s32
	s_or_saveexec_b64 s[6:7], -1
	buffer_store_dword v60, off, s[0:3], s33 offset:96 ; 4-byte Folded Spill
	s_mov_b64 exec, s[6:7]
	v_writelane_b32 v60, s4, 20
	s_addk_i32 s32, 0x1c00
	buffer_store_dword v40, off, s[0:3], s33 offset:44 ; 4-byte Folded Spill
	buffer_store_dword v41, off, s[0:3], s33 offset:40 ; 4-byte Folded Spill
	;; [unrolled: 1-line block ×11, first 2 shown]
	buffer_store_dword v59, off, s[0:3], s33 ; 4-byte Folded Spill
	v_writelane_b32 v60, s34, 0
	v_writelane_b32 v60, s35, 1
	;; [unrolled: 1-line block ×20, first 2 shown]
	v_mov_b32_e32 v41, v3
	v_bfi_b32 v3, v1, 0, v0
	v_mov_b32_e32 v45, v6
	v_mov_b32_e32 v44, v5
	;; [unrolled: 1-line block ×3, first 2 shown]
	s_mov_b64 s[34:35], s[8:9]
	v_cmp_ne_u32_e32 vcc, 0, v3
	s_mov_b64 s[26:27], 0
	s_mov_b64 s[36:37], 0
	s_and_saveexec_b64 s[4:5], vcc
	s_xor_b64 s[28:29], exec, s[4:5]
                                        ; implicit-def: $vgpr55_vgpr56
	s_cbranch_execz .LBB2_2
; %bb.1:
	s_getpc_b64 s[4:5]
	s_add_u32 s4, s4, .str.27@rel32@lo+4
	s_addc_u32 s5, s5, .str.27@rel32@hi+12
	s_getpc_b64 s[6:7]
	s_add_u32 s6, s6, .str.16@rel32@lo+4
	s_addc_u32 s7, s7, .str.16@rel32@hi+12
	s_getpc_b64 s[10:11]
	s_add_u32 s10, s10, __PRETTY_FUNCTION__._ZN3sop14minatoIsop5RecEjjiPNS_3SopEP7VecsMemIjLi8192EE@rel32@lo+4
	s_addc_u32 s11, s11, __PRETTY_FUNCTION__._ZN3sop14minatoIsop5RecEjjiPNS_3SopEP7VecsMemIjLi8192EE@rel32@hi+12
	s_getpc_b64 s[12:13]
	s_add_u32 s12, s12, __assert_fail@rel32@lo+4
	s_addc_u32 s13, s13, __assert_fail@rel32@hi+12
	s_mov_b64 s[8:9], s[34:35]
	v_mov_b32_e32 v0, s4
	v_mov_b32_e32 v1, s5
	;; [unrolled: 1-line block ×7, first 2 shown]
	s_swappc_b64 s[30:31], s[12:13]
	s_mov_b64 s[36:37], exec
                                        ; implicit-def: $vgpr0
                                        ; implicit-def: $vgpr44
                                        ; implicit-def: $vgpr1
                                        ; implicit-def: $vgpr2
.LBB2_2:
	s_or_saveexec_b64 s[38:39], s[28:29]
	s_mov_b64 s[4:5], 0
                                        ; implicit-def: $vgpr54
                                        ; implicit-def: $vgpr53
	s_xor_b64 exec, exec, s[38:39]
	s_cbranch_execz .LBB2_7
; %bb.3:
	v_cmp_ne_u32_e32 vcc, 0, v0
	s_mov_b64 s[6:7], -1
	s_mov_b64 s[8:9], s[36:37]
                                        ; implicit-def: $vgpr54
                                        ; implicit-def: $vgpr53
	s_and_saveexec_b64 s[48:49], vcc
	s_cbranch_execz .LBB2_416
; %bb.4:
	v_cmp_ne_u32_e32 vcc, -1, v1
	s_mov_b64 s[26:27], 0
	s_mov_b64 s[28:29], s[36:37]
                                        ; implicit-def: $vgpr54
                                        ; implicit-def: $vgpr53
	s_and_saveexec_b64 s[4:5], vcc
	s_xor_b64 s[50:51], exec, s[4:5]
	s_cbranch_execz .LBB2_271
; %bb.5:
	v_cmp_lt_i32_e32 vcc, 0, v2
	s_mov_b64 s[4:5], -1
	s_mov_b64 s[28:29], 0
                                        ; implicit-def: $vgpr46
                                        ; implicit-def: $vgpr43
                                        ; implicit-def: $vgpr55
                                        ; implicit-def: $vgpr47
	s_and_saveexec_b64 s[20:21], vcc
	s_cbranch_execz .LBB2_46
; %bb.6:
	v_lshrrev_b32_e32 v3, 8, v0
	v_xor_b32_e32 v3, v3, v0
	v_and_b32_e32 v3, 0xff00ff, v3
	v_cmp_eq_u32_e32 vcc, 0, v3
	v_lshrrev_b32_e32 v3, 4, v0
	v_xor_b32_e32 v3, v3, v0
	v_and_b32_e32 v3, 0xf0f0f0f, v3
	v_cmp_eq_u32_e64 s[4:5], 0, v3
	v_lshrrev_b32_e32 v3, 2, v0
	v_xor_b32_e32 v3, v3, v0
	v_and_b32_e32 v3, 0x33333333, v3
	v_cmp_eq_u32_e64 s[6:7], 0, v3
	v_lshrrev_b32_e32 v3, 1, v0
	v_xor_b32_e32 v3, v3, v0
	v_and_b32_e32 v3, 0x55555555, v3
	v_cmp_eq_u32_e64 s[8:9], 0, v3
	v_lshrrev_b32_e32 v3, 8, v1
	v_xor_b32_e32 v3, v3, v1
	v_and_b32_e32 v3, 0xff00ff, v3
	v_cmp_eq_u32_e64 s[10:11], 0, v3
	v_lshrrev_b32_e32 v3, 4, v1
	v_xor_b32_e32 v3, v3, v1
	v_and_b32_e32 v3, 0xf0f0f0f, v3
	v_cmp_eq_u32_e64 s[12:13], 0, v3
	v_lshrrev_b32_e32 v3, 2, v1
	v_xor_b32_e32 v3, v3, v1
	v_and_b32_e32 v3, 0x33333333, v3
	v_cmp_eq_u32_e64 s[14:15], 0, v3
	v_lshrrev_b32_e32 v3, 1, v1
	v_xor_b32_e32 v3, v3, v1
	v_lshrrev_b32_e32 v47, 16, v0
	v_lshrrev_b32_e32 v55, 16, v1
	v_and_b32_e32 v3, 0x55555555, v3
	v_cmp_eq_u32_sdwa s[22:23], v0, v47 src0_sel:WORD_0 src1_sel:DWORD
	v_cmp_eq_u32_sdwa s[24:25], v1, v55 src0_sel:WORD_0 src1_sel:DWORD
	v_cmp_eq_u32_e64 s[16:17], 0, v3
                                        ; implicit-def: $sgpr26_sgpr27
	s_branch .LBB2_11
.LBB2_7:
	s_or_b64 exec, exec, s[38:39]
	s_and_saveexec_b64 s[6:7], s[36:37]
	s_xor_b64 s[6:7], exec, s[6:7]
	s_cbranch_execz .LBB2_417
.LBB2_8:
	; divergent unreachable
	s_or_b64 exec, exec, s[6:7]
	s_and_saveexec_b64 s[6:7], s[26:27]
	s_cbranch_execnz .LBB2_418
	s_branch .LBB2_419
.LBB2_9:                                ;   in Loop: Header=BB2_11 Depth=1
	s_or_b64 exec, exec, s[46:47]
	s_orn2_b64 s[44:45], s[44:45], exec
	s_orn2_b64 s[18:19], s[18:19], exec
	v_mov_b32_e32 v43, v2
.LBB2_10:                               ;   in Loop: Header=BB2_11 Depth=1
	s_or_b64 exec, exec, s[40:41]
	s_xor_b64 s[40:41], s[44:45], -1
	s_and_b64 s[18:19], exec, s[18:19]
	s_or_b64 s[28:29], s[18:19], s[28:29]
	s_andn2_b64 s[18:19], s[26:27], exec
	s_and_b64 s[26:27], s[40:41], exec
	s_or_b64 s[26:27], s[18:19], s[26:27]
	s_andn2_b64 exec, exec, s[28:29]
	s_cbranch_execz .LBB2_215
.LBB2_11:                               ; =>This Inner Loop Header: Depth=1
	v_mov_b32_e32 v3, v2
	v_add_u32_e32 v2, -1, v3
	v_cmp_lt_i32_e64 s[18:19], 3, v3
	s_mov_b64 s[42:43], 0
                                        ; implicit-def: $vgpr43
                                        ; implicit-def: $vgpr46
	s_and_saveexec_b64 s[40:41], s[18:19]
	s_xor_b64 s[40:41], exec, s[40:41]
	s_cbranch_execz .LBB2_17
; %bb.12:                               ;   in Loop: Header=BB2_11 Depth=1
	v_cmp_lt_i32_e64 s[18:19], 4, v3
	s_and_saveexec_b64 s[44:45], s[18:19]
	s_xor_b64 s[18:19], exec, s[44:45]
; %bb.13:                               ;   in Loop: Header=BB2_11 Depth=1
	s_and_b64 s[42:43], s[22:23], exec
; %bb.14:                               ;   in Loop: Header=BB2_11 Depth=1
	s_or_saveexec_b64 s[18:19], s[18:19]
	v_mov_b32_e32 v46, 5
	v_mov_b32_e32 v43, 4
	s_xor_b64 exec, exec, s[18:19]
; %bb.15:                               ;   in Loop: Header=BB2_11 Depth=1
	s_andn2_b64 s[42:43], s[42:43], exec
	s_and_b64 s[44:45], vcc, exec
	v_mov_b32_e32 v46, 4
	s_or_b64 s[42:43], s[42:43], s[44:45]
	v_mov_b32_e32 v43, v2
; %bb.16:                               ;   in Loop: Header=BB2_11 Depth=1
	s_or_b64 exec, exec, s[18:19]
	s_and_b64 s[42:43], s[42:43], exec
.LBB2_17:                               ;   in Loop: Header=BB2_11 Depth=1
	s_andn2_saveexec_b64 s[40:41], s[40:41]
	s_cbranch_execz .LBB2_27
; %bb.18:                               ;   in Loop: Header=BB2_11 Depth=1
	v_cmp_lt_i32_e64 s[18:19], 2, v3
	s_mov_b64 s[44:45], s[42:43]
	s_and_saveexec_b64 s[46:47], s[18:19]
	s_xor_b64 s[18:19], exec, s[46:47]
; %bb.19:                               ;   in Loop: Header=BB2_11 Depth=1
	s_andn2_b64 s[44:45], s[42:43], exec
	s_and_b64 s[46:47], s[4:5], exec
	s_or_b64 s[44:45], s[44:45], s[46:47]
; %bb.20:                               ;   in Loop: Header=BB2_11 Depth=1
	s_or_saveexec_b64 s[46:47], s[18:19]
	v_mov_b32_e32 v46, 3
	s_xor_b64 exec, exec, s[46:47]
	s_cbranch_execz .LBB2_26
; %bb.21:                               ;   in Loop: Header=BB2_11 Depth=1
	v_cmp_ne_u32_e64 s[18:19], 2, v3
	s_mov_b64 s[56:57], s[44:45]
	s_and_saveexec_b64 s[58:59], s[18:19]
	s_xor_b64 s[18:19], exec, s[58:59]
; %bb.22:                               ;   in Loop: Header=BB2_11 Depth=1
	s_andn2_b64 s[56:57], s[44:45], exec
	s_and_b64 s[58:59], s[8:9], exec
	s_or_b64 s[56:57], s[56:57], s[58:59]
; %bb.23:                               ;   in Loop: Header=BB2_11 Depth=1
	s_or_saveexec_b64 s[18:19], s[18:19]
	v_mov_b32_e32 v46, 1
	s_xor_b64 exec, exec, s[18:19]
; %bb.24:                               ;   in Loop: Header=BB2_11 Depth=1
	s_andn2_b64 s[56:57], s[56:57], exec
	s_and_b64 s[58:59], s[6:7], exec
	v_mov_b32_e32 v46, 2
	s_or_b64 s[56:57], s[56:57], s[58:59]
; %bb.25:                               ;   in Loop: Header=BB2_11 Depth=1
	s_or_b64 exec, exec, s[18:19]
	s_andn2_b64 s[18:19], s[44:45], exec
	s_and_b64 s[44:45], s[56:57], exec
	s_or_b64 s[44:45], s[18:19], s[44:45]
.LBB2_26:                               ;   in Loop: Header=BB2_11 Depth=1
	s_or_b64 exec, exec, s[46:47]
	s_andn2_b64 s[18:19], s[42:43], exec
	s_and_b64 s[42:43], s[44:45], exec
	s_or_b64 s[42:43], s[18:19], s[42:43]
	v_mov_b32_e32 v43, v2
.LBB2_27:                               ;   in Loop: Header=BB2_11 Depth=1
	s_or_b64 exec, exec, s[40:41]
	s_mov_b64 s[18:19], -1
	s_mov_b64 s[44:45], -1
	s_and_saveexec_b64 s[40:41], s[42:43]
	s_cbranch_execz .LBB2_10
; %bb.28:                               ;   in Loop: Header=BB2_11 Depth=1
	v_cmp_lt_i32_e64 s[18:19], 3, v3
	s_mov_b64 s[42:43], 0
                                        ; implicit-def: $vgpr46
	s_and_saveexec_b64 s[44:45], s[18:19]
	s_xor_b64 s[44:45], exec, s[44:45]
	s_cbranch_execz .LBB2_34
; %bb.29:                               ;   in Loop: Header=BB2_11 Depth=1
	v_cmp_lt_i32_e64 s[18:19], 4, v3
	s_and_saveexec_b64 s[46:47], s[18:19]
	s_xor_b64 s[18:19], exec, s[46:47]
; %bb.30:                               ;   in Loop: Header=BB2_11 Depth=1
	s_and_b64 s[42:43], s[24:25], exec
; %bb.31:                               ;   in Loop: Header=BB2_11 Depth=1
	s_or_saveexec_b64 s[18:19], s[18:19]
	v_mov_b32_e32 v46, 5
	s_xor_b64 exec, exec, s[18:19]
; %bb.32:                               ;   in Loop: Header=BB2_11 Depth=1
	s_andn2_b64 s[42:43], s[42:43], exec
	s_and_b64 s[46:47], s[10:11], exec
	v_mov_b32_e32 v46, 4
	s_or_b64 s[42:43], s[42:43], s[46:47]
; %bb.33:                               ;   in Loop: Header=BB2_11 Depth=1
	s_or_b64 exec, exec, s[18:19]
	s_and_b64 s[42:43], s[42:43], exec
.LBB2_34:                               ;   in Loop: Header=BB2_11 Depth=1
	s_andn2_saveexec_b64 s[44:45], s[44:45]
	s_cbranch_execz .LBB2_44
; %bb.35:                               ;   in Loop: Header=BB2_11 Depth=1
	v_cmp_lt_i32_e64 s[18:19], 2, v3
	s_mov_b64 s[46:47], s[42:43]
	s_and_saveexec_b64 s[56:57], s[18:19]
	s_xor_b64 s[18:19], exec, s[56:57]
; %bb.36:                               ;   in Loop: Header=BB2_11 Depth=1
	s_andn2_b64 s[46:47], s[42:43], exec
	s_and_b64 s[56:57], s[12:13], exec
	s_or_b64 s[46:47], s[46:47], s[56:57]
; %bb.37:                               ;   in Loop: Header=BB2_11 Depth=1
	s_or_saveexec_b64 s[56:57], s[18:19]
	v_mov_b32_e32 v46, 3
	s_xor_b64 exec, exec, s[56:57]
	s_cbranch_execz .LBB2_43
; %bb.38:                               ;   in Loop: Header=BB2_11 Depth=1
	v_cmp_ne_u32_e64 s[18:19], 2, v3
	s_mov_b64 s[58:59], s[46:47]
	s_and_saveexec_b64 s[60:61], s[18:19]
	s_xor_b64 s[18:19], exec, s[60:61]
; %bb.39:                               ;   in Loop: Header=BB2_11 Depth=1
	s_andn2_b64 s[58:59], s[46:47], exec
	s_and_b64 s[60:61], s[16:17], exec
	s_or_b64 s[58:59], s[58:59], s[60:61]
; %bb.40:                               ;   in Loop: Header=BB2_11 Depth=1
	s_or_saveexec_b64 s[18:19], s[18:19]
	v_mov_b32_e32 v46, 1
	s_xor_b64 exec, exec, s[18:19]
; %bb.41:                               ;   in Loop: Header=BB2_11 Depth=1
	s_andn2_b64 s[58:59], s[58:59], exec
	s_and_b64 s[60:61], s[14:15], exec
	v_mov_b32_e32 v46, 2
	s_or_b64 s[58:59], s[58:59], s[60:61]
; %bb.42:                               ;   in Loop: Header=BB2_11 Depth=1
	s_or_b64 exec, exec, s[18:19]
	s_andn2_b64 s[18:19], s[46:47], exec
	s_and_b64 s[46:47], s[58:59], exec
	s_or_b64 s[46:47], s[18:19], s[46:47]
.LBB2_43:                               ;   in Loop: Header=BB2_11 Depth=1
	s_or_b64 exec, exec, s[56:57]
	s_andn2_b64 s[18:19], s[42:43], exec
	s_and_b64 s[42:43], s[46:47], exec
	s_or_b64 s[42:43], s[18:19], s[42:43]
.LBB2_44:                               ;   in Loop: Header=BB2_11 Depth=1
	s_or_b64 exec, exec, s[44:45]
	s_mov_b64 s[18:19], -1
	s_mov_b64 s[44:45], -1
	s_and_saveexec_b64 s[46:47], s[42:43]
	s_cbranch_execz .LBB2_9
; %bb.45:                               ;   in Loop: Header=BB2_11 Depth=1
	v_cmp_gt_u32_e64 s[18:19], 2, v3
	s_xor_b64 s[44:45], exec, -1
	s_orn2_b64 s[18:19], s[18:19], exec
	s_branch .LBB2_9
.LBB2_46:
	s_or_b64 exec, exec, s[20:21]
	s_mov_b64 s[52:53], s[36:37]
	s_and_saveexec_b64 s[26:27], s[4:5]
	s_cbranch_execz .LBB2_48
.LBB2_47:
	s_getpc_b64 s[4:5]
	s_add_u32 s4, s4, .str.21@rel32@lo+4
	s_addc_u32 s5, s5, .str.21@rel32@hi+12
	s_getpc_b64 s[6:7]
	s_add_u32 s6, s6, .str.16@rel32@lo+4
	s_addc_u32 s7, s7, .str.16@rel32@hi+12
	s_getpc_b64 s[10:11]
	s_add_u32 s10, s10, __PRETTY_FUNCTION__._ZN3sop14minatoIsop5RecEjjiPNS_3SopEP7VecsMemIjLi8192EE@rel32@lo+4
	s_addc_u32 s11, s11, __PRETTY_FUNCTION__._ZN3sop14minatoIsop5RecEjjiPNS_3SopEP7VecsMemIjLi8192EE@rel32@hi+12
	s_getpc_b64 s[12:13]
	s_add_u32 s12, s12, __assert_fail@rel32@lo+4
	s_addc_u32 s13, s13, __assert_fail@rel32@hi+12
	s_mov_b64 s[8:9], s[34:35]
	v_mov_b32_e32 v53, v0
	v_mov_b32_e32 v0, s4
	;; [unrolled: 1-line block ×9, first 2 shown]
	s_swappc_b64 s[30:31], s[12:13]
	v_mov_b32_e32 v1, v54
	v_mov_b32_e32 v0, v53
	s_or_b64 s[52:53], s[36:37], exec
	s_andn2_b64 s[28:29], s[28:29], exec
.LBB2_48:
	s_or_b64 exec, exec, s[26:27]
	s_mov_b64 s[4:5], 0
                                        ; implicit-def: $vgpr54
                                        ; implicit-def: $vgpr53
	s_and_saveexec_b64 s[54:55], s[28:29]
	s_cbranch_execz .LBB2_270
; %bb.49:
	v_cmp_lt_i32_e32 vcc, 3, v46
                                        ; implicit-def: $vgpr3
                                        ; implicit-def: $vgpr2
	s_and_saveexec_b64 s[4:5], vcc
	s_xor_b64 s[4:5], exec, s[4:5]
	s_cbranch_execz .LBB2_53
; %bb.50:
	v_cmp_gt_i32_e32 vcc, 5, v46
	v_mov_b32_e32 v2, 0xffff
	v_mov_b32_e32 v3, 0x10001
	s_and_saveexec_b64 s[6:7], vcc
; %bb.51:
	v_mov_b32_e32 v2, 0xff00ff
	v_mov_b32_e32 v3, 0x101
; %bb.52:
	s_or_b64 exec, exec, s[6:7]
.LBB2_53:
	s_andn2_saveexec_b64 s[4:5], s[4:5]
	s_cbranch_execz .LBB2_59
; %bb.54:
	v_cmp_lt_i32_e32 vcc, 2, v46
	s_and_saveexec_b64 s[6:7], vcc
	s_xor_b64 s[6:7], exec, s[6:7]
	s_or_saveexec_b64 s[6:7], s[6:7]
	v_mov_b32_e32 v2, 0xf0f0f0f
	v_mov_b32_e32 v3, 17
	s_xor_b64 exec, exec, s[6:7]
	s_cbranch_execz .LBB2_58
; %bb.55:
	v_cmp_ne_u32_e32 vcc, 2, v46
	s_and_saveexec_b64 s[8:9], vcc
	s_xor_b64 s[8:9], exec, s[8:9]
	s_or_saveexec_b64 s[8:9], s[8:9]
	v_mov_b32_e32 v2, 0x55555555
	v_mov_b32_e32 v3, 3
	s_xor_b64 exec, exec, s[8:9]
; %bb.56:
	v_mov_b32_e32 v2, 0x33333333
	v_mov_b32_e32 v3, 5
; %bb.57:
	s_or_b64 exec, exec, s[8:9]
.LBB2_58:
	s_or_b64 exec, exec, s[6:7]
.LBB2_59:
	s_or_b64 exec, exec, s[4:5]
	v_cmp_lt_i32_e32 vcc, 3, v46
                                        ; implicit-def: $vgpr57
	s_and_saveexec_b64 s[4:5], vcc
	s_xor_b64 s[4:5], exec, s[4:5]
	s_cbranch_execz .LBB2_65
; %bb.60:
	v_cmp_lt_i32_e32 vcc, 4, v46
                                        ; implicit-def: $vgpr57
	s_and_saveexec_b64 s[6:7], vcc
	s_xor_b64 s[6:7], exec, s[6:7]
; %bb.61:
	s_mov_b32 s8, 0xffff0000
	v_and_or_b32 v57, v0, s8, v47
; %bb.62:
	s_andn2_saveexec_b64 s[6:7], s[6:7]
; %bb.63:
	v_and_b32_e32 v4, 0xff00ff00, v0
	v_lshrrev_b32_e32 v5, 8, v4
	v_or_b32_e32 v57, v5, v4
; %bb.64:
	s_or_b64 exec, exec, s[6:7]
.LBB2_65:
	s_andn2_saveexec_b64 s[4:5], s[4:5]
	s_cbranch_execz .LBB2_75
; %bb.66:
	v_cmp_lt_i32_e32 vcc, 2, v46
                                        ; implicit-def: $vgpr57
	s_and_saveexec_b64 s[6:7], vcc
	s_xor_b64 s[6:7], exec, s[6:7]
; %bb.67:
	v_and_b32_e32 v4, 0xf0f0f0f0, v0
	v_lshrrev_b32_e32 v5, 4, v4
	v_or_b32_e32 v57, v5, v4
; %bb.68:
	s_andn2_saveexec_b64 s[6:7], s[6:7]
	s_cbranch_execz .LBB2_74
; %bb.69:
	v_cmp_ne_u32_e32 vcc, 2, v46
                                        ; implicit-def: $vgpr57
	s_and_saveexec_b64 s[8:9], vcc
	s_xor_b64 s[8:9], exec, s[8:9]
; %bb.70:
	v_and_b32_e32 v4, 0xaaaaaaaa, v0
	v_lshrrev_b32_e32 v5, 1, v4
	v_or_b32_e32 v57, v5, v4
; %bb.71:
	s_andn2_saveexec_b64 s[8:9], s[8:9]
; %bb.72:
	v_and_b32_e32 v4, 0xcccccccc, v0
	v_lshrrev_b32_e32 v5, 2, v4
	v_or_b32_e32 v57, v5, v4
; %bb.73:
	s_or_b64 exec, exec, s[8:9]
.LBB2_74:
	s_or_b64 exec, exec, s[6:7]
.LBB2_75:
	s_or_b64 exec, exec, s[4:5]
	v_cmp_lt_i32_e32 vcc, 3, v46
                                        ; implicit-def: $vgpr5
                                        ; implicit-def: $vgpr4
	s_and_saveexec_b64 s[4:5], vcc
	s_xor_b64 s[4:5], exec, s[4:5]
	s_cbranch_execz .LBB2_79
; %bb.76:
	v_cmp_gt_i32_e32 vcc, 5, v46
	v_mov_b32_e32 v4, 0xffff
	v_mov_b32_e32 v5, 0x10001
	s_and_saveexec_b64 s[6:7], vcc
; %bb.77:
	v_mov_b32_e32 v4, 0xff00ff
	v_mov_b32_e32 v5, 0x101
; %bb.78:
	s_or_b64 exec, exec, s[6:7]
.LBB2_79:
	s_andn2_saveexec_b64 s[4:5], s[4:5]
	s_cbranch_execz .LBB2_85
; %bb.80:
	v_cmp_lt_i32_e32 vcc, 2, v46
	s_and_saveexec_b64 s[6:7], vcc
	s_xor_b64 s[6:7], exec, s[6:7]
	s_or_saveexec_b64 s[6:7], s[6:7]
	v_mov_b32_e32 v4, 0xf0f0f0f
	v_mov_b32_e32 v5, 17
	s_xor_b64 exec, exec, s[6:7]
	s_cbranch_execz .LBB2_84
; %bb.81:
	v_cmp_ne_u32_e32 vcc, 2, v46
	s_and_saveexec_b64 s[8:9], vcc
	s_xor_b64 s[8:9], exec, s[8:9]
	s_or_saveexec_b64 s[8:9], s[8:9]
	v_mov_b32_e32 v4, 0x55555555
	v_mov_b32_e32 v5, 3
	s_xor_b64 exec, exec, s[8:9]
; %bb.82:
	v_mov_b32_e32 v4, 0x33333333
	v_mov_b32_e32 v5, 5
; %bb.83:
	s_or_b64 exec, exec, s[8:9]
.LBB2_84:
	s_or_b64 exec, exec, s[6:7]
.LBB2_85:
	s_or_b64 exec, exec, s[4:5]
	v_cmp_lt_i32_e32 vcc, 3, v46
                                        ; implicit-def: $vgpr40
	s_and_saveexec_b64 s[4:5], vcc
	s_xor_b64 s[4:5], exec, s[4:5]
	s_cbranch_execz .LBB2_91
; %bb.86:
	v_cmp_lt_i32_e32 vcc, 4, v46
                                        ; implicit-def: $vgpr40
	s_and_saveexec_b64 s[6:7], vcc
	s_xor_b64 s[6:7], exec, s[6:7]
; %bb.87:
	s_mov_b32 s8, 0xffff0000
	v_and_or_b32 v40, v1, s8, v55
; %bb.88:
	s_andn2_saveexec_b64 s[6:7], s[6:7]
; %bb.89:
	v_and_b32_e32 v6, 0xff00ff00, v1
	v_lshrrev_b32_e32 v7, 8, v6
	v_or_b32_e32 v40, v7, v6
; %bb.90:
	s_or_b64 exec, exec, s[6:7]
                                        ; implicit-def: $vgpr46
.LBB2_91:
	s_andn2_saveexec_b64 s[4:5], s[4:5]
	s_cbranch_execz .LBB2_101
; %bb.92:
	v_cmp_lt_i32_e32 vcc, 2, v46
                                        ; implicit-def: $vgpr40
	s_and_saveexec_b64 s[6:7], vcc
	s_xor_b64 s[6:7], exec, s[6:7]
; %bb.93:
	v_and_b32_e32 v6, 0xf0f0f0f0, v1
	v_lshrrev_b32_e32 v7, 4, v6
	v_or_b32_e32 v40, v7, v6
                                        ; implicit-def: $vgpr46
; %bb.94:
	s_andn2_saveexec_b64 s[6:7], s[6:7]
	s_cbranch_execz .LBB2_100
; %bb.95:
	v_cmp_ne_u32_e32 vcc, 2, v46
                                        ; implicit-def: $vgpr40
	s_and_saveexec_b64 s[8:9], vcc
	s_xor_b64 s[8:9], exec, s[8:9]
; %bb.96:
	v_and_b32_e32 v6, 0xaaaaaaaa, v1
	v_lshrrev_b32_e32 v7, 1, v6
	v_or_b32_e32 v40, v7, v6
; %bb.97:
	s_andn2_saveexec_b64 s[8:9], s[8:9]
; %bb.98:
	v_and_b32_e32 v6, 0xcccccccc, v1
	v_lshrrev_b32_e32 v7, 2, v6
	v_or_b32_e32 v40, v7, v6
; %bb.99:
	s_or_b64 exec, exec, s[8:9]
.LBB2_100:
	s_or_b64 exec, exec, s[6:7]
.LBB2_101:
	s_or_b64 exec, exec, s[4:5]
	v_and_b32_e32 v0, v2, v0
	v_mul_lo_u32 v58, v0, v3
	v_and_b32_e32 v0, v4, v1
	v_mul_lo_u32 v56, v0, v5
	s_mov_b64 s[64:65], src_private_base
	v_lshrrev_b32_e64 v3, 6, s33
	v_bfi_b32 v0, v40, 0, v58
	s_getpc_b64 s[66:67]
	s_add_u32 s66, s66, _ZN3sop14minatoIsop5RecEjjiPNS_3SopEP7VecsMemIjLi8192EE@rel32@lo+4
	s_addc_u32 s67, s67, _ZN3sop14minatoIsop5RecEjjiPNS_3SopEP7VecsMemIjLi8192EE@rel32@hi+12
	s_mov_b64 s[8:9], s[34:35]
	v_mov_b32_e32 v1, v56
	v_mov_b32_e32 v2, v43
	v_add_u32_e32 v3, 48, v3
	v_mov_b32_e32 v4, s65
	v_mov_b32_e32 v5, v44
	;; [unrolled: 1-line block ×3, first 2 shown]
	s_swappc_b64 s[30:31], s[66:67]
	v_lshrrev_b32_e64 v3, 6, s33
	v_mov_b32_e32 v46, v0
	v_bfi_b32 v0, v56, 0, v57
	s_mov_b64 s[8:9], s[34:35]
	v_mov_b32_e32 v1, v40
	v_mov_b32_e32 v2, v43
	v_add_u32_e32 v3, 64, v3
	v_mov_b32_e32 v4, s65
	v_mov_b32_e32 v5, v44
	;; [unrolled: 1-line block ×3, first 2 shown]
	s_swappc_b64 s[30:31], s[66:67]
	v_mov_b32_e32 v47, v0
	v_bfi_b32 v0, v46, 0, v58
	v_not_b32_e32 v1, v47
	v_lshrrev_b32_e64 v3, 6, s33
	v_and_or_b32 v0, v57, v1, v0
	v_and_b32_e32 v1, v56, v40
	s_mov_b64 s[8:9], s[34:35]
	v_mov_b32_e32 v2, v43
	v_add_u32_e32 v3, 0x50, v3
	v_mov_b32_e32 v4, s65
	v_mov_b32_e32 v5, v44
	;; [unrolled: 1-line block ×3, first 2 shown]
	s_swappc_b64 s[30:31], s[66:67]
	buffer_load_dword v1, off, s[0:3], s33 offset:48
	buffer_load_dword v59, off, s[0:3], s33 offset:52
	buffer_load_dword v58, off, s[0:3], s33 offset:68
	buffer_load_dword v3, off, s[0:3], s33 offset:64
	buffer_load_dword v57, off, s[0:3], s33 offset:84
	buffer_load_dword v4, off, s[0:3], s33 offset:80
	v_mov_b32_e32 v55, 0
	s_mov_b64 s[4:5], -1
	v_mov_b32_e32 v56, 0
	s_mov_b64 s[40:41], s[52:53]
	s_waitcnt vmcnt(3)
	v_add_u32_e32 v2, v58, v59
	v_add_u32_e32 v1, v2, v1
	s_waitcnt vmcnt(1)
	v_add_u32_e32 v2, v2, v57
	s_waitcnt vmcnt(0)
	v_add3_u32 v1, v1, v3, v4
	v_cmp_lt_i32_e32 vcc, 0, v2
	flat_store_dwordx2 v[41:42], v[1:2]
	s_and_saveexec_b64 s[26:27], vcc
	s_cbranch_execz .LBB2_247
; %bb.102:
	flat_load_dword v1, v[44:45]
	s_movk_i32 s4, 0x2001
	v_mov_b32_e32 v55, 0
	v_mov_b32_e32 v56, 0
	s_mov_b64 s[28:29], 0
	s_waitcnt vmcnt(0) lgkmcnt(0)
	v_add_u32_e32 v3, v1, v2
	v_cmp_gt_i32_e32 vcc, s4, v3
	s_and_saveexec_b64 s[4:5], vcc
	s_xor_b64 s[4:5], exec, s[4:5]
	s_cbranch_execz .LBB2_104
; %bb.103:
	v_ashrrev_i32_e32 v4, 31, v3
	flat_store_dword v[44:45], v3
	v_lshlrev_b64 v[3:4], 2, v[3:4]
	s_mov_b64 s[28:29], exec
	v_add_co_u32_e32 v5, vcc, v44, v3
	v_mov_b32_e32 v3, 0
	v_lshlrev_b64 v[1:2], 2, v[2:3]
	v_addc_co_u32_e32 v4, vcc, v45, v4, vcc
	v_sub_co_u32_e32 v1, vcc, v5, v1
	v_subb_co_u32_e32 v2, vcc, v4, v2, vcc
	v_add_co_u32_e32 v55, vcc, 4, v1
	v_addc_co_u32_e32 v56, vcc, 0, v2, vcc
.LBB2_104:
	s_or_saveexec_b64 s[40:41], s[4:5]
	s_mov_b64 s[4:5], s[52:53]
	s_xor_b64 exec, exec, s[40:41]
	s_cbranch_execz .LBB2_246
; %bb.105:
	s_load_dwordx2 s[6:7], s[34:35], 0x50
	v_mbcnt_lo_u32_b32 v1, -1, 0
	v_mbcnt_hi_u32_b32 v31, -1, v1
	v_readfirstlane_b32 s4, v31
	v_mov_b32_e32 v6, 0
	v_mov_b32_e32 v7, 0
	v_cmp_eq_u32_e64 s[4:5], s4, v31
	s_and_saveexec_b64 s[8:9], s[4:5]
	s_cbranch_execz .LBB2_111
; %bb.106:
	v_mov_b32_e32 v1, 0
	s_waitcnt lgkmcnt(0)
	global_load_dwordx2 v[4:5], v1, s[6:7] offset:24 glc
	s_waitcnt vmcnt(0)
	buffer_wbinvl1_vol
	global_load_dwordx2 v[2:3], v1, s[6:7] offset:40
	global_load_dwordx2 v[6:7], v1, s[6:7]
	s_waitcnt vmcnt(1)
	v_and_b32_e32 v2, v2, v4
	v_and_b32_e32 v3, v3, v5
	v_mul_lo_u32 v3, v3, 24
	v_mul_hi_u32 v8, v2, 24
	v_mul_lo_u32 v2, v2, 24
	v_add_u32_e32 v3, v8, v3
	s_waitcnt vmcnt(0)
	v_add_co_u32_e32 v2, vcc, v6, v2
	v_addc_co_u32_e32 v3, vcc, v7, v3, vcc
	global_load_dwordx2 v[2:3], v[2:3], off glc
	s_waitcnt vmcnt(0)
	global_atomic_cmpswap_x2 v[6:7], v1, v[2:5], s[6:7] offset:24 glc
	s_waitcnt vmcnt(0)
	buffer_wbinvl1_vol
	v_cmp_ne_u64_e32 vcc, v[6:7], v[4:5]
	s_and_saveexec_b64 s[10:11], vcc
	s_cbranch_execz .LBB2_110
; %bb.107:
	s_mov_b64 s[12:13], 0
.LBB2_108:                              ; =>This Inner Loop Header: Depth=1
	s_sleep 1
	global_load_dwordx2 v[2:3], v1, s[6:7] offset:40
	global_load_dwordx2 v[8:9], v1, s[6:7]
	v_mov_b32_e32 v4, v6
	v_mov_b32_e32 v5, v7
	s_waitcnt vmcnt(1)
	v_and_b32_e32 v2, v2, v4
	s_waitcnt vmcnt(0)
	v_mad_u64_u32 v[6:7], s[14:15], v2, 24, v[8:9]
	v_and_b32_e32 v3, v3, v5
	v_mov_b32_e32 v2, v7
	v_mad_u64_u32 v[2:3], s[14:15], v3, 24, v[2:3]
	v_mov_b32_e32 v7, v2
	global_load_dwordx2 v[2:3], v[6:7], off glc
	s_waitcnt vmcnt(0)
	global_atomic_cmpswap_x2 v[6:7], v1, v[2:5], s[6:7] offset:24 glc
	s_waitcnt vmcnt(0)
	buffer_wbinvl1_vol
	v_cmp_eq_u64_e32 vcc, v[6:7], v[4:5]
	s_or_b64 s[12:13], vcc, s[12:13]
	s_andn2_b64 exec, exec, s[12:13]
	s_cbranch_execnz .LBB2_108
; %bb.109:
	s_or_b64 exec, exec, s[12:13]
.LBB2_110:
	s_or_b64 exec, exec, s[10:11]
.LBB2_111:
	s_or_b64 exec, exec, s[8:9]
	v_mov_b32_e32 v5, 0
	s_waitcnt lgkmcnt(0)
	global_load_dwordx2 v[8:9], v5, s[6:7] offset:40
	global_load_dwordx4 v[1:4], v5, s[6:7]
	v_readfirstlane_b32 s9, v7
	v_readfirstlane_b32 s8, v6
	s_mov_b64 s[10:11], exec
	s_waitcnt vmcnt(0)
	v_readfirstlane_b32 s12, v8
	v_readfirstlane_b32 s13, v9
	s_and_b64 s[12:13], s[12:13], s[8:9]
	s_mul_i32 s14, s13, 24
	s_mul_hi_u32 s15, s12, 24
	s_mul_i32 s16, s12, 24
	s_add_i32 s14, s15, s14
	v_mov_b32_e32 v6, s14
	v_add_co_u32_e32 v8, vcc, s16, v1
	v_addc_co_u32_e32 v9, vcc, v2, v6, vcc
	s_and_saveexec_b64 s[14:15], s[4:5]
	s_cbranch_execz .LBB2_113
; %bb.112:
	v_mov_b32_e32 v10, s10
	v_mov_b32_e32 v11, s11
	;; [unrolled: 1-line block ×4, first 2 shown]
	global_store_dwordx4 v[8:9], v[10:13], off offset:8
.LBB2_113:
	s_or_b64 exec, exec, s[14:15]
	s_lshl_b64 s[10:11], s[12:13], 12
	v_mov_b32_e32 v6, s11
	v_add_co_u32_e32 v3, vcc, s10, v3
	v_addc_co_u32_e32 v12, vcc, v4, v6, vcc
	v_lshlrev_b32_e32 v30, 6, v31
	s_mov_b32 s12, 0
	v_mov_b32_e32 v4, 33
	v_mov_b32_e32 v6, v5
	;; [unrolled: 1-line block ×3, first 2 shown]
	v_readfirstlane_b32 s10, v3
	v_readfirstlane_b32 s11, v12
	v_add_co_u32_e32 v10, vcc, v3, v30
	s_mov_b32 s13, s12
	s_mov_b32 s14, s12
	;; [unrolled: 1-line block ×3, first 2 shown]
	s_nop 0
	global_store_dwordx4 v30, v[4:7], s[10:11]
	v_mov_b32_e32 v3, s12
	v_addc_co_u32_e32 v11, vcc, 0, v12, vcc
	v_mov_b32_e32 v4, s13
	v_mov_b32_e32 v5, s14
	;; [unrolled: 1-line block ×3, first 2 shown]
	global_store_dwordx4 v30, v[3:6], s[10:11] offset:16
	global_store_dwordx4 v30, v[3:6], s[10:11] offset:32
	;; [unrolled: 1-line block ×3, first 2 shown]
	s_and_saveexec_b64 s[10:11], s[4:5]
	s_cbranch_execz .LBB2_121
; %bb.114:
	v_mov_b32_e32 v7, 0
	global_load_dwordx2 v[14:15], v7, s[6:7] offset:32 glc
	global_load_dwordx2 v[3:4], v7, s[6:7] offset:40
	v_mov_b32_e32 v12, s8
	v_mov_b32_e32 v13, s9
	s_waitcnt vmcnt(0)
	v_and_b32_e32 v3, s8, v3
	v_and_b32_e32 v4, s9, v4
	v_mul_lo_u32 v4, v4, 24
	v_mul_hi_u32 v5, v3, 24
	v_mul_lo_u32 v3, v3, 24
	v_add_u32_e32 v4, v5, v4
	v_add_co_u32_e32 v5, vcc, v1, v3
	v_addc_co_u32_e32 v6, vcc, v2, v4, vcc
	global_store_dwordx2 v[5:6], v[14:15], off
	s_waitcnt vmcnt(0)
	global_atomic_cmpswap_x2 v[3:4], v7, v[12:15], s[6:7] offset:32 glc
	s_waitcnt vmcnt(0)
	v_cmp_ne_u64_e32 vcc, v[3:4], v[14:15]
	s_and_saveexec_b64 s[12:13], vcc
	s_cbranch_execz .LBB2_117
; %bb.115:
	s_mov_b64 s[14:15], 0
.LBB2_116:                              ; =>This Inner Loop Header: Depth=1
	s_sleep 1
	global_store_dwordx2 v[5:6], v[3:4], off
	v_mov_b32_e32 v1, s8
	v_mov_b32_e32 v2, s9
	s_waitcnt vmcnt(0)
	global_atomic_cmpswap_x2 v[1:2], v7, v[1:4], s[6:7] offset:32 glc
	s_waitcnt vmcnt(0)
	v_cmp_eq_u64_e32 vcc, v[1:2], v[3:4]
	v_mov_b32_e32 v4, v2
	s_or_b64 s[14:15], vcc, s[14:15]
	v_mov_b32_e32 v3, v1
	s_andn2_b64 exec, exec, s[14:15]
	s_cbranch_execnz .LBB2_116
.LBB2_117:
	s_or_b64 exec, exec, s[12:13]
	v_mov_b32_e32 v4, 0
	global_load_dwordx2 v[1:2], v4, s[6:7] offset:16
	s_mov_b64 s[12:13], exec
	v_mbcnt_lo_u32_b32 v3, s12, 0
	v_mbcnt_hi_u32_b32 v3, s13, v3
	v_cmp_eq_u32_e32 vcc, 0, v3
	s_and_saveexec_b64 s[14:15], vcc
	s_cbranch_execz .LBB2_119
; %bb.118:
	s_bcnt1_i32_b64 s12, s[12:13]
	v_mov_b32_e32 v3, s12
	s_waitcnt vmcnt(0)
	global_atomic_add_x2 v[1:2], v[3:4], off offset:8
.LBB2_119:
	s_or_b64 exec, exec, s[14:15]
	s_waitcnt vmcnt(0)
	global_load_dwordx2 v[3:4], v[1:2], off offset:16
	s_waitcnt vmcnt(0)
	v_cmp_eq_u64_e32 vcc, 0, v[3:4]
	s_cbranch_vccnz .LBB2_121
; %bb.120:
	global_load_dword v1, v[1:2], off offset:24
	v_mov_b32_e32 v2, 0
	s_waitcnt vmcnt(0)
	v_readfirstlane_b32 s12, v1
	s_and_b32 m0, s12, 0xffffff
	global_store_dwordx2 v[3:4], v[1:2], off
	s_sendmsg sendmsg(MSG_INTERRUPT)
.LBB2_121:
	s_or_b64 exec, exec, s[10:11]
	s_branch .LBB2_123
.LBB2_122:
	s_branch .LBB2_127
.LBB2_123:                              ; =>This Inner Loop Header: Depth=1
	v_mov_b32_e32 v1, 1
	s_and_saveexec_b64 s[10:11], s[4:5]
	s_cbranch_execz .LBB2_125
; %bb.124:                              ;   in Loop: Header=BB2_123 Depth=1
	global_load_dword v1, v[8:9], off offset:20 glc
	s_waitcnt vmcnt(0)
	buffer_wbinvl1_vol
	v_and_b32_e32 v1, 1, v1
.LBB2_125:                              ;   in Loop: Header=BB2_123 Depth=1
	s_or_b64 exec, exec, s[10:11]
	v_readfirstlane_b32 s10, v1
	s_cmp_eq_u32 s10, 0
	s_cbranch_scc1 .LBB2_122
; %bb.126:                              ;   in Loop: Header=BB2_123 Depth=1
	s_sleep 1
	s_cbranch_execnz .LBB2_123
.LBB2_127:
	global_load_dwordx2 v[1:2], v[10:11], off
	s_and_saveexec_b64 s[10:11], s[4:5]
	s_cbranch_execz .LBB2_130
; %bb.128:
	v_mov_b32_e32 v9, 0
	global_load_dwordx2 v[3:4], v9, s[6:7] offset:40
	global_load_dwordx2 v[12:13], v9, s[6:7] offset:24 glc
	global_load_dwordx2 v[5:6], v9, s[6:7]
	s_waitcnt vmcnt(2)
	v_readfirstlane_b32 s12, v3
	v_readfirstlane_b32 s13, v4
	s_add_u32 s14, s12, 1
	s_addc_u32 s15, s13, 0
	s_add_u32 s4, s14, s8
	s_addc_u32 s5, s15, s9
	s_cmp_eq_u64 s[4:5], 0
	s_cselect_b32 s5, s15, s5
	s_cselect_b32 s4, s14, s4
	s_and_b64 s[8:9], s[4:5], s[12:13]
	s_mul_i32 s9, s9, 24
	s_mul_hi_u32 s12, s8, 24
	s_mul_i32 s8, s8, 24
	s_add_i32 s9, s12, s9
	v_mov_b32_e32 v3, s9
	s_waitcnt vmcnt(0)
	v_add_co_u32_e32 v7, vcc, s8, v5
	v_addc_co_u32_e32 v8, vcc, v6, v3, vcc
	v_mov_b32_e32 v10, s4
	global_store_dwordx2 v[7:8], v[12:13], off
	v_mov_b32_e32 v11, s5
	s_waitcnt vmcnt(0)
	global_atomic_cmpswap_x2 v[5:6], v9, v[10:13], s[6:7] offset:24 glc
	s_mov_b64 s[8:9], 0
	s_waitcnt vmcnt(0)
	v_cmp_ne_u64_e32 vcc, v[5:6], v[12:13]
	s_and_b64 exec, exec, vcc
	s_cbranch_execz .LBB2_130
.LBB2_129:                              ; =>This Inner Loop Header: Depth=1
	s_sleep 1
	global_store_dwordx2 v[7:8], v[5:6], off
	v_mov_b32_e32 v3, s4
	v_mov_b32_e32 v4, s5
	s_waitcnt vmcnt(0)
	global_atomic_cmpswap_x2 v[3:4], v9, v[3:6], s[6:7] offset:24 glc
	s_waitcnt vmcnt(0)
	v_cmp_eq_u64_e32 vcc, v[3:4], v[5:6]
	v_mov_b32_e32 v6, v4
	s_or_b64 s[8:9], vcc, s[8:9]
	v_mov_b32_e32 v5, v3
	s_andn2_b64 exec, exec, s[8:9]
	s_cbranch_execnz .LBB2_129
.LBB2_130:
	s_or_b64 exec, exec, s[10:11]
	s_getpc_b64 s[8:9]
	s_add_u32 s8, s8, .str.28@rel32@lo+4
	s_addc_u32 s9, s9, .str.28@rel32@hi+12
	s_cmp_lg_u64 s[8:9], 0
	s_cbranch_scc0 .LBB2_217
; %bb.131:
	s_waitcnt vmcnt(0)
	v_and_b32_e32 v7, -3, v1
	v_mov_b32_e32 v8, v2
	s_mov_b64 s[10:11], 35
	v_mov_b32_e32 v27, 0
	v_mov_b32_e32 v5, 2
	;; [unrolled: 1-line block ×3, first 2 shown]
	s_branch .LBB2_133
.LBB2_132:                              ;   in Loop: Header=BB2_133 Depth=1
	s_or_b64 exec, exec, s[16:17]
	s_sub_u32 s10, s10, s12
	s_subb_u32 s11, s11, s13
	s_add_u32 s8, s8, s12
	s_addc_u32 s9, s9, s13
	s_cmp_lg_u64 s[10:11], 0
	s_cbranch_scc0 .LBB2_216
.LBB2_133:                              ; =>This Loop Header: Depth=1
                                        ;     Child Loop BB2_136 Depth 2
                                        ;     Child Loop BB2_144 Depth 2
	;; [unrolled: 1-line block ×11, first 2 shown]
	v_cmp_lt_u64_e64 s[4:5], s[10:11], 56
	v_cmp_gt_u64_e64 s[14:15], s[10:11], 7
	s_and_b64 s[4:5], s[4:5], exec
	s_cselect_b32 s13, s11, 0
	s_cselect_b32 s12, s10, 56
	s_add_u32 s4, s8, 8
	s_addc_u32 s5, s9, 0
	s_and_b64 vcc, exec, s[14:15]
	s_cbranch_vccnz .LBB2_137
; %bb.134:                              ;   in Loop: Header=BB2_133 Depth=1
	s_cmp_eq_u64 s[10:11], 0
	s_cbranch_scc1 .LBB2_138
; %bb.135:                              ;   in Loop: Header=BB2_133 Depth=1
	s_waitcnt vmcnt(0)
	v_mov_b32_e32 v9, 0
	s_lshl_b64 s[4:5], s[12:13], 3
	s_mov_b64 s[14:15], 0
	v_mov_b32_e32 v10, 0
	s_mov_b64 s[16:17], s[8:9]
.LBB2_136:                              ;   Parent Loop BB2_133 Depth=1
                                        ; =>  This Inner Loop Header: Depth=2
	global_load_ubyte v3, v27, s[16:17]
	s_waitcnt vmcnt(0)
	v_and_b32_e32 v26, 0xffff, v3
	v_lshlrev_b64 v[3:4], s14, v[26:27]
	s_add_u32 s14, s14, 8
	s_addc_u32 s15, s15, 0
	s_add_u32 s16, s16, 1
	s_addc_u32 s17, s17, 0
	v_or_b32_e32 v9, v3, v9
	s_cmp_lg_u32 s4, s14
	v_or_b32_e32 v10, v4, v10
	s_cbranch_scc1 .LBB2_136
	s_branch .LBB2_139
.LBB2_137:                              ;   in Loop: Header=BB2_133 Depth=1
	s_mov_b32 s18, 0
	s_branch .LBB2_140
.LBB2_138:                              ;   in Loop: Header=BB2_133 Depth=1
	s_waitcnt vmcnt(0)
	v_mov_b32_e32 v9, 0
	v_mov_b32_e32 v10, 0
.LBB2_139:                              ;   in Loop: Header=BB2_133 Depth=1
	s_mov_b64 s[4:5], s[8:9]
	s_mov_b32 s18, 0
	s_cbranch_execnz .LBB2_141
.LBB2_140:                              ;   in Loop: Header=BB2_133 Depth=1
	global_load_dwordx2 v[9:10], v27, s[8:9]
	s_add_i32 s18, s12, -8
.LBB2_141:                              ;   in Loop: Header=BB2_133 Depth=1
	s_add_u32 s14, s4, 8
	s_addc_u32 s15, s5, 0
	s_cmp_gt_u32 s18, 7
	s_cbranch_scc1 .LBB2_145
; %bb.142:                              ;   in Loop: Header=BB2_133 Depth=1
	s_cmp_eq_u32 s18, 0
	s_cbranch_scc1 .LBB2_146
; %bb.143:                              ;   in Loop: Header=BB2_133 Depth=1
	v_mov_b32_e32 v11, 0
	s_mov_b64 s[14:15], 0
	v_mov_b32_e32 v12, 0
	s_mov_b64 s[16:17], 0
.LBB2_144:                              ;   Parent Loop BB2_133 Depth=1
                                        ; =>  This Inner Loop Header: Depth=2
	s_add_u32 s20, s4, s16
	s_addc_u32 s21, s5, s17
	global_load_ubyte v3, v27, s[20:21]
	s_add_u32 s16, s16, 1
	s_addc_u32 s17, s17, 0
	s_waitcnt vmcnt(0)
	v_and_b32_e32 v26, 0xffff, v3
	v_lshlrev_b64 v[3:4], s14, v[26:27]
	s_add_u32 s14, s14, 8
	s_addc_u32 s15, s15, 0
	v_or_b32_e32 v11, v3, v11
	s_cmp_lg_u32 s18, s16
	v_or_b32_e32 v12, v4, v12
	s_cbranch_scc1 .LBB2_144
	s_branch .LBB2_147
.LBB2_145:                              ;   in Loop: Header=BB2_133 Depth=1
                                        ; implicit-def: $vgpr11_vgpr12
	s_mov_b32 s19, 0
	s_branch .LBB2_148
.LBB2_146:                              ;   in Loop: Header=BB2_133 Depth=1
	v_mov_b32_e32 v11, 0
	v_mov_b32_e32 v12, 0
.LBB2_147:                              ;   in Loop: Header=BB2_133 Depth=1
	s_mov_b64 s[14:15], s[4:5]
	s_mov_b32 s19, 0
	s_cbranch_execnz .LBB2_149
.LBB2_148:                              ;   in Loop: Header=BB2_133 Depth=1
	global_load_dwordx2 v[11:12], v27, s[4:5]
	s_add_i32 s19, s18, -8
.LBB2_149:                              ;   in Loop: Header=BB2_133 Depth=1
	s_add_u32 s4, s14, 8
	s_addc_u32 s5, s15, 0
	s_cmp_gt_u32 s19, 7
	s_cbranch_scc1 .LBB2_153
; %bb.150:                              ;   in Loop: Header=BB2_133 Depth=1
	s_cmp_eq_u32 s19, 0
	s_cbranch_scc1 .LBB2_154
; %bb.151:                              ;   in Loop: Header=BB2_133 Depth=1
	v_mov_b32_e32 v13, 0
	s_mov_b64 s[4:5], 0
	v_mov_b32_e32 v14, 0
	s_mov_b64 s[16:17], 0
.LBB2_152:                              ;   Parent Loop BB2_133 Depth=1
                                        ; =>  This Inner Loop Header: Depth=2
	s_add_u32 s20, s14, s16
	s_addc_u32 s21, s15, s17
	global_load_ubyte v3, v27, s[20:21]
	s_add_u32 s16, s16, 1
	s_addc_u32 s17, s17, 0
	s_waitcnt vmcnt(0)
	v_and_b32_e32 v26, 0xffff, v3
	v_lshlrev_b64 v[3:4], s4, v[26:27]
	s_add_u32 s4, s4, 8
	s_addc_u32 s5, s5, 0
	v_or_b32_e32 v13, v3, v13
	s_cmp_lg_u32 s19, s16
	v_or_b32_e32 v14, v4, v14
	s_cbranch_scc1 .LBB2_152
	s_branch .LBB2_155
.LBB2_153:                              ;   in Loop: Header=BB2_133 Depth=1
	s_mov_b32 s18, 0
	s_branch .LBB2_156
.LBB2_154:                              ;   in Loop: Header=BB2_133 Depth=1
	v_mov_b32_e32 v13, 0
	v_mov_b32_e32 v14, 0
.LBB2_155:                              ;   in Loop: Header=BB2_133 Depth=1
	s_mov_b64 s[4:5], s[14:15]
	s_mov_b32 s18, 0
	s_cbranch_execnz .LBB2_157
.LBB2_156:                              ;   in Loop: Header=BB2_133 Depth=1
	global_load_dwordx2 v[13:14], v27, s[14:15]
	s_add_i32 s18, s19, -8
.LBB2_157:                              ;   in Loop: Header=BB2_133 Depth=1
	s_add_u32 s14, s4, 8
	s_addc_u32 s15, s5, 0
	s_cmp_gt_u32 s18, 7
	s_cbranch_scc1 .LBB2_161
; %bb.158:                              ;   in Loop: Header=BB2_133 Depth=1
	s_cmp_eq_u32 s18, 0
	s_cbranch_scc1 .LBB2_162
; %bb.159:                              ;   in Loop: Header=BB2_133 Depth=1
	v_mov_b32_e32 v15, 0
	s_mov_b64 s[14:15], 0
	v_mov_b32_e32 v16, 0
	s_mov_b64 s[16:17], 0
.LBB2_160:                              ;   Parent Loop BB2_133 Depth=1
                                        ; =>  This Inner Loop Header: Depth=2
	s_add_u32 s20, s4, s16
	s_addc_u32 s21, s5, s17
	global_load_ubyte v3, v27, s[20:21]
	s_add_u32 s16, s16, 1
	s_addc_u32 s17, s17, 0
	s_waitcnt vmcnt(0)
	v_and_b32_e32 v26, 0xffff, v3
	v_lshlrev_b64 v[3:4], s14, v[26:27]
	s_add_u32 s14, s14, 8
	s_addc_u32 s15, s15, 0
	v_or_b32_e32 v15, v3, v15
	s_cmp_lg_u32 s18, s16
	v_or_b32_e32 v16, v4, v16
	s_cbranch_scc1 .LBB2_160
	s_branch .LBB2_163
.LBB2_161:                              ;   in Loop: Header=BB2_133 Depth=1
                                        ; implicit-def: $vgpr15_vgpr16
	s_mov_b32 s19, 0
	s_branch .LBB2_164
.LBB2_162:                              ;   in Loop: Header=BB2_133 Depth=1
	v_mov_b32_e32 v15, 0
	v_mov_b32_e32 v16, 0
.LBB2_163:                              ;   in Loop: Header=BB2_133 Depth=1
	s_mov_b64 s[14:15], s[4:5]
	s_mov_b32 s19, 0
	s_cbranch_execnz .LBB2_165
.LBB2_164:                              ;   in Loop: Header=BB2_133 Depth=1
	global_load_dwordx2 v[15:16], v27, s[4:5]
	s_add_i32 s19, s18, -8
.LBB2_165:                              ;   in Loop: Header=BB2_133 Depth=1
	s_add_u32 s4, s14, 8
	s_addc_u32 s5, s15, 0
	s_cmp_gt_u32 s19, 7
	s_cbranch_scc1 .LBB2_169
; %bb.166:                              ;   in Loop: Header=BB2_133 Depth=1
	s_cmp_eq_u32 s19, 0
	s_cbranch_scc1 .LBB2_170
; %bb.167:                              ;   in Loop: Header=BB2_133 Depth=1
	v_mov_b32_e32 v17, 0
	s_mov_b64 s[4:5], 0
	v_mov_b32_e32 v18, 0
	s_mov_b64 s[16:17], 0
.LBB2_168:                              ;   Parent Loop BB2_133 Depth=1
                                        ; =>  This Inner Loop Header: Depth=2
	s_add_u32 s20, s14, s16
	s_addc_u32 s21, s15, s17
	global_load_ubyte v3, v27, s[20:21]
	s_add_u32 s16, s16, 1
	s_addc_u32 s17, s17, 0
	s_waitcnt vmcnt(0)
	v_and_b32_e32 v26, 0xffff, v3
	v_lshlrev_b64 v[3:4], s4, v[26:27]
	s_add_u32 s4, s4, 8
	s_addc_u32 s5, s5, 0
	v_or_b32_e32 v17, v3, v17
	s_cmp_lg_u32 s19, s16
	v_or_b32_e32 v18, v4, v18
	s_cbranch_scc1 .LBB2_168
	s_branch .LBB2_171
.LBB2_169:                              ;   in Loop: Header=BB2_133 Depth=1
	s_mov_b32 s18, 0
	s_branch .LBB2_172
.LBB2_170:                              ;   in Loop: Header=BB2_133 Depth=1
	v_mov_b32_e32 v17, 0
	v_mov_b32_e32 v18, 0
.LBB2_171:                              ;   in Loop: Header=BB2_133 Depth=1
	s_mov_b64 s[4:5], s[14:15]
	s_mov_b32 s18, 0
	s_cbranch_execnz .LBB2_173
.LBB2_172:                              ;   in Loop: Header=BB2_133 Depth=1
	global_load_dwordx2 v[17:18], v27, s[14:15]
	s_add_i32 s18, s19, -8
.LBB2_173:                              ;   in Loop: Header=BB2_133 Depth=1
	s_add_u32 s14, s4, 8
	s_addc_u32 s15, s5, 0
	s_cmp_gt_u32 s18, 7
	s_cbranch_scc1 .LBB2_177
; %bb.174:                              ;   in Loop: Header=BB2_133 Depth=1
	s_cmp_eq_u32 s18, 0
	s_cbranch_scc1 .LBB2_178
; %bb.175:                              ;   in Loop: Header=BB2_133 Depth=1
	v_mov_b32_e32 v19, 0
	s_mov_b64 s[14:15], 0
	v_mov_b32_e32 v20, 0
	s_mov_b64 s[16:17], 0
.LBB2_176:                              ;   Parent Loop BB2_133 Depth=1
                                        ; =>  This Inner Loop Header: Depth=2
	s_add_u32 s20, s4, s16
	s_addc_u32 s21, s5, s17
	global_load_ubyte v3, v27, s[20:21]
	s_add_u32 s16, s16, 1
	s_addc_u32 s17, s17, 0
	s_waitcnt vmcnt(0)
	v_and_b32_e32 v26, 0xffff, v3
	v_lshlrev_b64 v[3:4], s14, v[26:27]
	s_add_u32 s14, s14, 8
	s_addc_u32 s15, s15, 0
	v_or_b32_e32 v19, v3, v19
	s_cmp_lg_u32 s18, s16
	v_or_b32_e32 v20, v4, v20
	s_cbranch_scc1 .LBB2_176
	s_branch .LBB2_179
.LBB2_177:                              ;   in Loop: Header=BB2_133 Depth=1
                                        ; implicit-def: $vgpr19_vgpr20
	s_mov_b32 s19, 0
	s_branch .LBB2_180
.LBB2_178:                              ;   in Loop: Header=BB2_133 Depth=1
	v_mov_b32_e32 v19, 0
	v_mov_b32_e32 v20, 0
.LBB2_179:                              ;   in Loop: Header=BB2_133 Depth=1
	s_mov_b64 s[14:15], s[4:5]
	s_mov_b32 s19, 0
	s_cbranch_execnz .LBB2_181
.LBB2_180:                              ;   in Loop: Header=BB2_133 Depth=1
	global_load_dwordx2 v[19:20], v27, s[4:5]
	s_add_i32 s19, s18, -8
.LBB2_181:                              ;   in Loop: Header=BB2_133 Depth=1
	s_cmp_gt_u32 s19, 7
	s_cbranch_scc1 .LBB2_213
; %bb.182:                              ;   in Loop: Header=BB2_133 Depth=1
	s_cmp_eq_u32 s19, 0
	s_cbranch_scc1 .LBB2_214
; %bb.183:                              ;   in Loop: Header=BB2_133 Depth=1
	v_mov_b32_e32 v21, 0
	s_mov_b64 s[4:5], 0
	v_mov_b32_e32 v22, 0
	s_mov_b64 s[16:17], s[14:15]
.LBB2_184:                              ;   Parent Loop BB2_133 Depth=1
                                        ; =>  This Inner Loop Header: Depth=2
	global_load_ubyte v3, v27, s[16:17]
	s_add_i32 s19, s19, -1
	s_waitcnt vmcnt(0)
	v_and_b32_e32 v26, 0xffff, v3
	v_lshlrev_b64 v[3:4], s4, v[26:27]
	s_add_u32 s4, s4, 8
	s_addc_u32 s5, s5, 0
	s_add_u32 s16, s16, 1
	s_addc_u32 s17, s17, 0
	v_or_b32_e32 v21, v3, v21
	s_cmp_lg_u32 s19, 0
	v_or_b32_e32 v22, v4, v22
	s_cbranch_scc1 .LBB2_184
; %bb.185:                              ;   in Loop: Header=BB2_133 Depth=1
	s_cbranch_execnz .LBB2_187
.LBB2_186:                              ;   in Loop: Header=BB2_133 Depth=1
	global_load_dwordx2 v[21:22], v27, s[14:15]
.LBB2_187:                              ;   in Loop: Header=BB2_133 Depth=1
	v_readfirstlane_b32 s4, v31
	v_mov_b32_e32 v3, 0
	v_mov_b32_e32 v4, 0
	v_cmp_eq_u32_e64 s[4:5], s4, v31
	s_and_saveexec_b64 s[14:15], s[4:5]
	s_cbranch_execz .LBB2_193
; %bb.188:                              ;   in Loop: Header=BB2_133 Depth=1
	global_load_dwordx2 v[25:26], v27, s[6:7] offset:24 glc
	s_waitcnt vmcnt(0)
	buffer_wbinvl1_vol
	global_load_dwordx2 v[3:4], v27, s[6:7] offset:40
	global_load_dwordx2 v[23:24], v27, s[6:7]
	s_waitcnt vmcnt(1)
	v_and_b32_e32 v3, v3, v25
	v_and_b32_e32 v4, v4, v26
	v_mul_lo_u32 v4, v4, 24
	v_mul_hi_u32 v28, v3, 24
	v_mul_lo_u32 v3, v3, 24
	v_add_u32_e32 v4, v28, v4
	s_waitcnt vmcnt(0)
	v_add_co_u32_e32 v3, vcc, v23, v3
	v_addc_co_u32_e32 v4, vcc, v24, v4, vcc
	global_load_dwordx2 v[23:24], v[3:4], off glc
	s_waitcnt vmcnt(0)
	global_atomic_cmpswap_x2 v[3:4], v27, v[23:26], s[6:7] offset:24 glc
	s_waitcnt vmcnt(0)
	buffer_wbinvl1_vol
	v_cmp_ne_u64_e32 vcc, v[3:4], v[25:26]
	s_and_saveexec_b64 s[16:17], vcc
	s_cbranch_execz .LBB2_192
; %bb.189:                              ;   in Loop: Header=BB2_133 Depth=1
	s_mov_b64 s[18:19], 0
.LBB2_190:                              ;   Parent Loop BB2_133 Depth=1
                                        ; =>  This Inner Loop Header: Depth=2
	s_sleep 1
	global_load_dwordx2 v[23:24], v27, s[6:7] offset:40
	global_load_dwordx2 v[28:29], v27, s[6:7]
	v_mov_b32_e32 v26, v4
	v_mov_b32_e32 v25, v3
	s_waitcnt vmcnt(1)
	v_and_b32_e32 v3, v23, v25
	s_waitcnt vmcnt(0)
	v_mad_u64_u32 v[3:4], s[20:21], v3, 24, v[28:29]
	v_and_b32_e32 v23, v24, v26
	v_mad_u64_u32 v[23:24], s[20:21], v23, 24, v[4:5]
	v_mov_b32_e32 v4, v23
	global_load_dwordx2 v[23:24], v[3:4], off glc
	s_waitcnt vmcnt(0)
	global_atomic_cmpswap_x2 v[3:4], v27, v[23:26], s[6:7] offset:24 glc
	s_waitcnt vmcnt(0)
	buffer_wbinvl1_vol
	v_cmp_eq_u64_e32 vcc, v[3:4], v[25:26]
	s_or_b64 s[18:19], vcc, s[18:19]
	s_andn2_b64 exec, exec, s[18:19]
	s_cbranch_execnz .LBB2_190
; %bb.191:                              ;   in Loop: Header=BB2_133 Depth=1
	s_or_b64 exec, exec, s[18:19]
.LBB2_192:                              ;   in Loop: Header=BB2_133 Depth=1
	s_or_b64 exec, exec, s[16:17]
.LBB2_193:                              ;   in Loop: Header=BB2_133 Depth=1
	s_or_b64 exec, exec, s[14:15]
	global_load_dwordx2 v[28:29], v27, s[6:7] offset:40
	global_load_dwordx4 v[23:26], v27, s[6:7]
	v_readfirstlane_b32 s15, v4
	v_readfirstlane_b32 s14, v3
	s_mov_b64 s[16:17], exec
	s_waitcnt vmcnt(1)
	v_readfirstlane_b32 s18, v28
	v_readfirstlane_b32 s19, v29
	s_and_b64 s[18:19], s[18:19], s[14:15]
	s_mul_i32 s20, s19, 24
	s_mul_hi_u32 s21, s18, 24
	s_mul_i32 s22, s18, 24
	s_add_i32 s20, s21, s20
	v_mov_b32_e32 v3, s20
	s_waitcnt vmcnt(0)
	v_add_co_u32_e32 v28, vcc, s22, v23
	v_addc_co_u32_e32 v29, vcc, v24, v3, vcc
	s_and_saveexec_b64 s[20:21], s[4:5]
	s_cbranch_execz .LBB2_195
; %bb.194:                              ;   in Loop: Header=BB2_133 Depth=1
	v_mov_b32_e32 v3, s16
	v_mov_b32_e32 v4, s17
	global_store_dwordx4 v[28:29], v[3:6], off offset:8
.LBB2_195:                              ;   in Loop: Header=BB2_133 Depth=1
	s_or_b64 exec, exec, s[20:21]
	s_lshl_b64 s[16:17], s[18:19], 12
	v_cmp_gt_u64_e64 s[18:19], s[10:11], 56
	v_mov_b32_e32 v3, s17
	v_add_co_u32_e32 v25, vcc, s16, v25
	s_and_b64 s[16:17], s[18:19], exec
	s_cselect_b32 s16, 0, 2
	s_lshl_b32 s17, s12, 2
	v_addc_co_u32_e32 v32, vcc, v26, v3, vcc
	s_add_i32 s17, s17, 28
	v_and_b32_e32 v3, 0xffffff1f, v7
	s_and_b32 s17, s17, 0x1e0
	v_or_b32_e32 v3, s16, v3
	v_or_b32_e32 v7, s17, v3
	v_readfirstlane_b32 s16, v25
	v_readfirstlane_b32 s17, v32
	s_nop 4
	global_store_dwordx4 v30, v[7:10], s[16:17]
	global_store_dwordx4 v30, v[11:14], s[16:17] offset:16
	global_store_dwordx4 v30, v[15:18], s[16:17] offset:32
	;; [unrolled: 1-line block ×3, first 2 shown]
	s_and_saveexec_b64 s[16:17], s[4:5]
	s_cbranch_execz .LBB2_203
; %bb.196:                              ;   in Loop: Header=BB2_133 Depth=1
	global_load_dwordx2 v[11:12], v27, s[6:7] offset:32 glc
	global_load_dwordx2 v[3:4], v27, s[6:7] offset:40
	v_mov_b32_e32 v9, s14
	v_mov_b32_e32 v10, s15
	s_waitcnt vmcnt(0)
	v_readfirstlane_b32 s18, v3
	v_readfirstlane_b32 s19, v4
	s_and_b64 s[18:19], s[18:19], s[14:15]
	s_mul_i32 s19, s19, 24
	s_mul_hi_u32 s20, s18, 24
	s_mul_i32 s18, s18, 24
	s_add_i32 s19, s20, s19
	v_mov_b32_e32 v4, s19
	v_add_co_u32_e32 v3, vcc, s18, v23
	v_addc_co_u32_e32 v4, vcc, v24, v4, vcc
	global_store_dwordx2 v[3:4], v[11:12], off
	s_waitcnt vmcnt(0)
	global_atomic_cmpswap_x2 v[9:10], v27, v[9:12], s[6:7] offset:32 glc
	s_waitcnt vmcnt(0)
	v_cmp_ne_u64_e32 vcc, v[9:10], v[11:12]
	s_and_saveexec_b64 s[18:19], vcc
	s_cbranch_execz .LBB2_199
; %bb.197:                              ;   in Loop: Header=BB2_133 Depth=1
	s_mov_b64 s[20:21], 0
.LBB2_198:                              ;   Parent Loop BB2_133 Depth=1
                                        ; =>  This Inner Loop Header: Depth=2
	s_sleep 1
	global_store_dwordx2 v[3:4], v[9:10], off
	v_mov_b32_e32 v7, s14
	v_mov_b32_e32 v8, s15
	s_waitcnt vmcnt(0)
	global_atomic_cmpswap_x2 v[7:8], v27, v[7:10], s[6:7] offset:32 glc
	s_waitcnt vmcnt(0)
	v_cmp_eq_u64_e32 vcc, v[7:8], v[9:10]
	v_mov_b32_e32 v10, v8
	s_or_b64 s[20:21], vcc, s[20:21]
	v_mov_b32_e32 v9, v7
	s_andn2_b64 exec, exec, s[20:21]
	s_cbranch_execnz .LBB2_198
.LBB2_199:                              ;   in Loop: Header=BB2_133 Depth=1
	s_or_b64 exec, exec, s[18:19]
	global_load_dwordx2 v[3:4], v27, s[6:7] offset:16
	s_mov_b64 s[20:21], exec
	v_mbcnt_lo_u32_b32 v7, s20, 0
	v_mbcnt_hi_u32_b32 v7, s21, v7
	v_cmp_eq_u32_e32 vcc, 0, v7
	s_and_saveexec_b64 s[18:19], vcc
	s_cbranch_execz .LBB2_201
; %bb.200:                              ;   in Loop: Header=BB2_133 Depth=1
	s_bcnt1_i32_b64 s20, s[20:21]
	v_mov_b32_e32 v26, s20
	s_waitcnt vmcnt(0)
	global_atomic_add_x2 v[3:4], v[26:27], off offset:8
.LBB2_201:                              ;   in Loop: Header=BB2_133 Depth=1
	s_or_b64 exec, exec, s[18:19]
	s_waitcnt vmcnt(0)
	global_load_dwordx2 v[7:8], v[3:4], off offset:16
	s_waitcnt vmcnt(0)
	v_cmp_eq_u64_e32 vcc, 0, v[7:8]
	s_cbranch_vccnz .LBB2_203
; %bb.202:                              ;   in Loop: Header=BB2_133 Depth=1
	global_load_dword v26, v[3:4], off offset:24
	s_waitcnt vmcnt(0)
	v_readfirstlane_b32 s18, v26
	s_and_b32 m0, s18, 0xffffff
	global_store_dwordx2 v[7:8], v[26:27], off
	s_sendmsg sendmsg(MSG_INTERRUPT)
.LBB2_203:                              ;   in Loop: Header=BB2_133 Depth=1
	s_or_b64 exec, exec, s[16:17]
	v_add_co_u32_e32 v3, vcc, v25, v30
	v_addc_co_u32_e32 v4, vcc, 0, v32, vcc
	s_branch .LBB2_205
.LBB2_204:                              ;   in Loop: Header=BB2_133 Depth=1
	s_branch .LBB2_209
.LBB2_205:                              ;   Parent Loop BB2_133 Depth=1
                                        ; =>  This Inner Loop Header: Depth=2
	v_mov_b32_e32 v7, 1
	s_and_saveexec_b64 s[16:17], s[4:5]
	s_cbranch_execz .LBB2_207
; %bb.206:                              ;   in Loop: Header=BB2_205 Depth=2
	global_load_dword v7, v[28:29], off offset:20 glc
	s_waitcnt vmcnt(0)
	buffer_wbinvl1_vol
	v_and_b32_e32 v7, 1, v7
.LBB2_207:                              ;   in Loop: Header=BB2_205 Depth=2
	s_or_b64 exec, exec, s[16:17]
	v_readfirstlane_b32 s16, v7
	s_cmp_eq_u32 s16, 0
	s_cbranch_scc1 .LBB2_204
; %bb.208:                              ;   in Loop: Header=BB2_205 Depth=2
	s_sleep 1
	s_cbranch_execnz .LBB2_205
.LBB2_209:                              ;   in Loop: Header=BB2_133 Depth=1
	global_load_dwordx4 v[7:10], v[3:4], off
	s_and_saveexec_b64 s[16:17], s[4:5]
	s_cbranch_execz .LBB2_132
; %bb.210:                              ;   in Loop: Header=BB2_133 Depth=1
	global_load_dwordx2 v[3:4], v27, s[6:7] offset:40
	global_load_dwordx2 v[13:14], v27, s[6:7] offset:24 glc
	global_load_dwordx2 v[9:10], v27, s[6:7]
	s_waitcnt vmcnt(2)
	v_readfirstlane_b32 s18, v3
	v_readfirstlane_b32 s19, v4
	s_add_u32 s20, s18, 1
	s_addc_u32 s21, s19, 0
	s_add_u32 s4, s20, s14
	s_addc_u32 s5, s21, s15
	s_cmp_eq_u64 s[4:5], 0
	s_cselect_b32 s5, s21, s5
	s_cselect_b32 s4, s20, s4
	s_and_b64 s[14:15], s[4:5], s[18:19]
	s_mul_i32 s15, s15, 24
	s_mul_hi_u32 s18, s14, 24
	s_mul_i32 s14, s14, 24
	s_add_i32 s15, s18, s15
	v_mov_b32_e32 v4, s15
	s_waitcnt vmcnt(0)
	v_add_co_u32_e32 v3, vcc, s14, v9
	v_addc_co_u32_e32 v4, vcc, v10, v4, vcc
	v_mov_b32_e32 v11, s4
	global_store_dwordx2 v[3:4], v[13:14], off
	v_mov_b32_e32 v12, s5
	s_waitcnt vmcnt(0)
	global_atomic_cmpswap_x2 v[11:12], v27, v[11:14], s[6:7] offset:24 glc
	s_waitcnt vmcnt(0)
	v_cmp_ne_u64_e32 vcc, v[11:12], v[13:14]
	s_and_b64 exec, exec, vcc
	s_cbranch_execz .LBB2_132
; %bb.211:                              ;   in Loop: Header=BB2_133 Depth=1
	s_mov_b64 s[14:15], 0
.LBB2_212:                              ;   Parent Loop BB2_133 Depth=1
                                        ; =>  This Inner Loop Header: Depth=2
	s_sleep 1
	global_store_dwordx2 v[3:4], v[11:12], off
	v_mov_b32_e32 v9, s4
	v_mov_b32_e32 v10, s5
	s_waitcnt vmcnt(0)
	global_atomic_cmpswap_x2 v[9:10], v27, v[9:12], s[6:7] offset:24 glc
	s_waitcnt vmcnt(0)
	v_cmp_eq_u64_e32 vcc, v[9:10], v[11:12]
	v_mov_b32_e32 v12, v10
	s_or_b64 s[14:15], vcc, s[14:15]
	v_mov_b32_e32 v11, v9
	s_andn2_b64 exec, exec, s[14:15]
	s_cbranch_execnz .LBB2_212
	s_branch .LBB2_132
.LBB2_213:                              ;   in Loop: Header=BB2_133 Depth=1
	s_branch .LBB2_186
.LBB2_214:                              ;   in Loop: Header=BB2_133 Depth=1
	v_mov_b32_e32 v21, 0
	v_mov_b32_e32 v22, 0
	s_cbranch_execnz .LBB2_187
	s_branch .LBB2_186
.LBB2_215:
	s_or_b64 exec, exec, s[28:29]
	s_mov_b64 s[28:29], exec
	s_orn2_b64 s[4:5], s[26:27], exec
	s_or_b64 exec, exec, s[20:21]
	s_mov_b64 s[52:53], s[36:37]
	s_and_saveexec_b64 s[26:27], s[4:5]
	s_cbranch_execz .LBB2_48
	s_branch .LBB2_47
.LBB2_216:
	s_mov_b64 s[4:5], 0
	s_branch .LBB2_218
.LBB2_217:
	s_mov_b64 s[4:5], -1
.LBB2_218:
	v_mov_b32_e32 v53, v0
	s_and_b64 vcc, exec, s[4:5]
	s_cbranch_vccz .LBB2_245
; %bb.219:
	v_readfirstlane_b32 s4, v31
	s_waitcnt vmcnt(0)
	v_mov_b32_e32 v9, 0
	v_mov_b32_e32 v10, 0
	v_cmp_eq_u32_e64 s[4:5], s4, v31
	s_and_saveexec_b64 s[8:9], s[4:5]
	s_cbranch_execz .LBB2_225
; %bb.220:
	v_mov_b32_e32 v0, 0
	global_load_dwordx2 v[5:6], v0, s[6:7] offset:24 glc
	s_waitcnt vmcnt(0)
	buffer_wbinvl1_vol
	global_load_dwordx2 v[3:4], v0, s[6:7] offset:40
	global_load_dwordx2 v[7:8], v0, s[6:7]
	s_waitcnt vmcnt(1)
	v_and_b32_e32 v3, v3, v5
	v_and_b32_e32 v4, v4, v6
	v_mul_lo_u32 v4, v4, 24
	v_mul_hi_u32 v9, v3, 24
	v_mul_lo_u32 v3, v3, 24
	v_add_u32_e32 v4, v9, v4
	s_waitcnt vmcnt(0)
	v_add_co_u32_e32 v3, vcc, v7, v3
	v_addc_co_u32_e32 v4, vcc, v8, v4, vcc
	global_load_dwordx2 v[3:4], v[3:4], off glc
	s_waitcnt vmcnt(0)
	global_atomic_cmpswap_x2 v[9:10], v0, v[3:6], s[6:7] offset:24 glc
	s_waitcnt vmcnt(0)
	buffer_wbinvl1_vol
	v_cmp_ne_u64_e32 vcc, v[9:10], v[5:6]
	s_and_saveexec_b64 s[10:11], vcc
	s_cbranch_execz .LBB2_224
; %bb.221:
	s_mov_b64 s[12:13], 0
.LBB2_222:                              ; =>This Inner Loop Header: Depth=1
	s_sleep 1
	global_load_dwordx2 v[3:4], v0, s[6:7] offset:40
	global_load_dwordx2 v[7:8], v0, s[6:7]
	v_mov_b32_e32 v5, v9
	v_mov_b32_e32 v6, v10
	s_waitcnt vmcnt(1)
	v_and_b32_e32 v3, v3, v5
	s_waitcnt vmcnt(0)
	v_mad_u64_u32 v[7:8], s[14:15], v3, 24, v[7:8]
	v_and_b32_e32 v4, v4, v6
	v_mov_b32_e32 v3, v8
	v_mad_u64_u32 v[3:4], s[14:15], v4, 24, v[3:4]
	v_mov_b32_e32 v8, v3
	global_load_dwordx2 v[3:4], v[7:8], off glc
	s_waitcnt vmcnt(0)
	global_atomic_cmpswap_x2 v[9:10], v0, v[3:6], s[6:7] offset:24 glc
	s_waitcnt vmcnt(0)
	buffer_wbinvl1_vol
	v_cmp_eq_u64_e32 vcc, v[9:10], v[5:6]
	s_or_b64 s[12:13], vcc, s[12:13]
	s_andn2_b64 exec, exec, s[12:13]
	s_cbranch_execnz .LBB2_222
; %bb.223:
	s_or_b64 exec, exec, s[12:13]
.LBB2_224:
	s_or_b64 exec, exec, s[10:11]
.LBB2_225:
	s_or_b64 exec, exec, s[8:9]
	v_mov_b32_e32 v3, 0
	global_load_dwordx2 v[11:12], v3, s[6:7] offset:40
	global_load_dwordx4 v[5:8], v3, s[6:7]
	v_readfirstlane_b32 s9, v10
	v_readfirstlane_b32 s8, v9
	s_mov_b64 s[10:11], exec
	s_waitcnt vmcnt(1)
	v_readfirstlane_b32 s12, v11
	v_readfirstlane_b32 s13, v12
	s_and_b64 s[12:13], s[12:13], s[8:9]
	s_mul_i32 s14, s13, 24
	s_mul_hi_u32 s15, s12, 24
	s_mul_i32 s16, s12, 24
	s_add_i32 s14, s15, s14
	v_mov_b32_e32 v0, s14
	s_waitcnt vmcnt(0)
	v_add_co_u32_e32 v9, vcc, s16, v5
	v_addc_co_u32_e32 v10, vcc, v6, v0, vcc
	s_and_saveexec_b64 s[14:15], s[4:5]
	s_cbranch_execz .LBB2_227
; %bb.226:
	v_mov_b32_e32 v12, s11
	v_mov_b32_e32 v11, s10
	v_mov_b32_e32 v13, 2
	v_mov_b32_e32 v14, 1
	global_store_dwordx4 v[9:10], v[11:14], off offset:8
.LBB2_227:
	s_or_b64 exec, exec, s[14:15]
	s_lshl_b64 s[10:11], s[12:13], 12
	v_mov_b32_e32 v0, s11
	v_add_co_u32_e32 v7, vcc, s10, v7
	v_addc_co_u32_e32 v0, vcc, v8, v0, vcc
	s_movk_i32 s10, 0xff1d
	v_and_or_b32 v1, v1, s10, 34
	s_mov_b32 s12, 0
	v_mov_b32_e32 v4, v3
	v_readfirstlane_b32 s10, v7
	v_readfirstlane_b32 s11, v0
	s_mov_b32 s13, s12
	s_mov_b32 s14, s12
	;; [unrolled: 1-line block ×3, first 2 shown]
	s_nop 1
	global_store_dwordx4 v30, v[1:4], s[10:11]
	v_mov_b32_e32 v0, s12
	v_mov_b32_e32 v1, s13
	;; [unrolled: 1-line block ×4, first 2 shown]
	global_store_dwordx4 v30, v[0:3], s[10:11] offset:16
	global_store_dwordx4 v30, v[0:3], s[10:11] offset:32
	;; [unrolled: 1-line block ×3, first 2 shown]
	s_and_saveexec_b64 s[10:11], s[4:5]
	s_cbranch_execz .LBB2_235
; %bb.228:
	v_mov_b32_e32 v7, 0
	global_load_dwordx2 v[13:14], v7, s[6:7] offset:32 glc
	global_load_dwordx2 v[0:1], v7, s[6:7] offset:40
	v_mov_b32_e32 v11, s8
	v_mov_b32_e32 v12, s9
	s_waitcnt vmcnt(0)
	v_readfirstlane_b32 s12, v0
	v_readfirstlane_b32 s13, v1
	s_and_b64 s[12:13], s[12:13], s[8:9]
	s_mul_i32 s13, s13, 24
	s_mul_hi_u32 s14, s12, 24
	s_mul_i32 s12, s12, 24
	s_add_i32 s13, s14, s13
	v_mov_b32_e32 v0, s13
	v_add_co_u32_e32 v4, vcc, s12, v5
	v_addc_co_u32_e32 v5, vcc, v6, v0, vcc
	global_store_dwordx2 v[4:5], v[13:14], off
	s_waitcnt vmcnt(0)
	global_atomic_cmpswap_x2 v[2:3], v7, v[11:14], s[6:7] offset:32 glc
	s_waitcnt vmcnt(0)
	v_cmp_ne_u64_e32 vcc, v[2:3], v[13:14]
	s_and_saveexec_b64 s[12:13], vcc
	s_cbranch_execz .LBB2_231
; %bb.229:
	s_mov_b64 s[14:15], 0
.LBB2_230:                              ; =>This Inner Loop Header: Depth=1
	s_sleep 1
	global_store_dwordx2 v[4:5], v[2:3], off
	v_mov_b32_e32 v0, s8
	v_mov_b32_e32 v1, s9
	s_waitcnt vmcnt(0)
	global_atomic_cmpswap_x2 v[0:1], v7, v[0:3], s[6:7] offset:32 glc
	s_waitcnt vmcnt(0)
	v_cmp_eq_u64_e32 vcc, v[0:1], v[2:3]
	v_mov_b32_e32 v3, v1
	s_or_b64 s[14:15], vcc, s[14:15]
	v_mov_b32_e32 v2, v0
	s_andn2_b64 exec, exec, s[14:15]
	s_cbranch_execnz .LBB2_230
.LBB2_231:
	s_or_b64 exec, exec, s[12:13]
	v_mov_b32_e32 v3, 0
	global_load_dwordx2 v[0:1], v3, s[6:7] offset:16
	s_mov_b64 s[12:13], exec
	v_mbcnt_lo_u32_b32 v2, s12, 0
	v_mbcnt_hi_u32_b32 v2, s13, v2
	v_cmp_eq_u32_e32 vcc, 0, v2
	s_and_saveexec_b64 s[14:15], vcc
	s_cbranch_execz .LBB2_233
; %bb.232:
	s_bcnt1_i32_b64 s12, s[12:13]
	v_mov_b32_e32 v2, s12
	s_waitcnt vmcnt(0)
	global_atomic_add_x2 v[0:1], v[2:3], off offset:8
.LBB2_233:
	s_or_b64 exec, exec, s[14:15]
	s_waitcnt vmcnt(0)
	global_load_dwordx2 v[2:3], v[0:1], off offset:16
	s_waitcnt vmcnt(0)
	v_cmp_eq_u64_e32 vcc, 0, v[2:3]
	s_cbranch_vccnz .LBB2_235
; %bb.234:
	global_load_dword v0, v[0:1], off offset:24
	v_mov_b32_e32 v1, 0
	s_waitcnt vmcnt(0)
	v_readfirstlane_b32 s12, v0
	s_and_b32 m0, s12, 0xffffff
	global_store_dwordx2 v[2:3], v[0:1], off
	s_sendmsg sendmsg(MSG_INTERRUPT)
.LBB2_235:
	s_or_b64 exec, exec, s[10:11]
	s_branch .LBB2_237
.LBB2_236:
	s_branch .LBB2_241
.LBB2_237:                              ; =>This Inner Loop Header: Depth=1
	v_mov_b32_e32 v0, 1
	s_and_saveexec_b64 s[10:11], s[4:5]
	s_cbranch_execz .LBB2_239
; %bb.238:                              ;   in Loop: Header=BB2_237 Depth=1
	global_load_dword v0, v[9:10], off offset:20 glc
	s_waitcnt vmcnt(0)
	buffer_wbinvl1_vol
	v_and_b32_e32 v0, 1, v0
.LBB2_239:                              ;   in Loop: Header=BB2_237 Depth=1
	s_or_b64 exec, exec, s[10:11]
	v_readfirstlane_b32 s10, v0
	s_cmp_eq_u32 s10, 0
	s_cbranch_scc1 .LBB2_236
; %bb.240:                              ;   in Loop: Header=BB2_237 Depth=1
	s_sleep 1
	s_cbranch_execnz .LBB2_237
.LBB2_241:
	s_and_saveexec_b64 s[10:11], s[4:5]
	s_cbranch_execz .LBB2_244
; %bb.242:
	v_mov_b32_e32 v6, 0
	global_load_dwordx2 v[0:1], v6, s[6:7] offset:40
	global_load_dwordx2 v[9:10], v6, s[6:7] offset:24 glc
	global_load_dwordx2 v[2:3], v6, s[6:7]
	s_waitcnt vmcnt(2)
	v_readfirstlane_b32 s12, v0
	v_readfirstlane_b32 s13, v1
	s_add_u32 s14, s12, 1
	s_addc_u32 s15, s13, 0
	s_add_u32 s4, s14, s8
	s_addc_u32 s5, s15, s9
	s_cmp_eq_u64 s[4:5], 0
	s_cselect_b32 s5, s15, s5
	s_cselect_b32 s4, s14, s4
	s_and_b64 s[8:9], s[4:5], s[12:13]
	s_mul_i32 s9, s9, 24
	s_mul_hi_u32 s12, s8, 24
	s_mul_i32 s8, s8, 24
	s_add_i32 s9, s12, s9
	v_mov_b32_e32 v0, s9
	s_waitcnt vmcnt(0)
	v_add_co_u32_e32 v4, vcc, s8, v2
	v_addc_co_u32_e32 v5, vcc, v3, v0, vcc
	v_mov_b32_e32 v7, s4
	global_store_dwordx2 v[4:5], v[9:10], off
	v_mov_b32_e32 v8, s5
	s_waitcnt vmcnt(0)
	global_atomic_cmpswap_x2 v[2:3], v6, v[7:10], s[6:7] offset:24 glc
	s_mov_b64 s[8:9], 0
	s_waitcnt vmcnt(0)
	v_cmp_ne_u64_e32 vcc, v[2:3], v[9:10]
	s_and_b64 exec, exec, vcc
	s_cbranch_execz .LBB2_244
.LBB2_243:                              ; =>This Inner Loop Header: Depth=1
	s_sleep 1
	global_store_dwordx2 v[4:5], v[2:3], off
	v_mov_b32_e32 v0, s4
	v_mov_b32_e32 v1, s5
	s_waitcnt vmcnt(0)
	global_atomic_cmpswap_x2 v[0:1], v6, v[0:3], s[6:7] offset:24 glc
	s_waitcnt vmcnt(0)
	v_cmp_eq_u64_e32 vcc, v[0:1], v[2:3]
	v_mov_b32_e32 v3, v1
	s_or_b64 s[8:9], vcc, s[8:9]
	v_mov_b32_e32 v2, v0
	s_andn2_b64 exec, exec, s[8:9]
	s_cbranch_execnz .LBB2_243
.LBB2_244:
	s_or_b64 exec, exec, s[10:11]
.LBB2_245:
	s_getpc_b64 s[4:5]
	s_add_u32 s4, s4, .str.29@rel32@lo+4
	s_addc_u32 s5, s5, .str.29@rel32@hi+12
	s_getpc_b64 s[6:7]
	s_add_u32 s6, s6, .str.19@rel32@lo+4
	s_addc_u32 s7, s7, .str.19@rel32@hi+12
	s_getpc_b64 s[10:11]
	s_add_u32 s10, s10, __PRETTY_FUNCTION__._ZN7VecsMemIjLi8192EE5fetchEi@rel32@lo+4
	s_addc_u32 s11, s11, __PRETTY_FUNCTION__._ZN7VecsMemIjLi8192EE5fetchEi@rel32@hi+12
	s_getpc_b64 s[12:13]
	s_add_u32 s12, s12, __assert_fail@rel32@lo+4
	s_addc_u32 s13, s13, __assert_fail@rel32@hi+12
	s_mov_b64 s[8:9], s[34:35]
	v_mov_b32_e32 v0, s4
	s_waitcnt vmcnt(0)
	v_mov_b32_e32 v1, s5
	v_mov_b32_e32 v2, s6
	v_mov_b32_e32 v3, s7
	v_mov_b32_e32 v4, 12
	v_mov_b32_e32 v5, s10
	v_mov_b32_e32 v6, s11
	s_swappc_b64 s[30:31], s[12:13]
	s_or_b64 s[4:5], s[52:53], exec
	v_mov_b32_e32 v0, v53
.LBB2_246:
	s_or_b64 exec, exec, s[40:41]
	s_andn2_b64 s[6:7], s[52:53], exec
	s_and_b64 s[4:5], s[4:5], exec
	s_or_b64 s[40:41], s[6:7], s[4:5]
	s_orn2_b64 s[4:5], s[28:29], exec
.LBB2_247:
	s_or_b64 exec, exec, s[26:27]
	s_mov_b64 s[6:7], 0
                                        ; implicit-def: $vgpr54
                                        ; implicit-def: $vgpr53
	s_and_saveexec_b64 s[26:27], s[4:5]
	s_cbranch_execz .LBB2_269
; %bb.248:
	v_cmp_ne_u64_e32 vcc, 0, v[55:56]
	s_mov_b64 s[42:43], 0
	s_mov_b64 s[44:45], s[40:41]
	flat_store_dwordx2 v[41:42], v[55:56] offset:8
                                        ; implicit-def: $vgpr54
                                        ; implicit-def: $vgpr53
	s_and_saveexec_b64 s[4:5], vcc
	s_xor_b64 s[28:29], exec, s[4:5]
	s_cbranch_execz .LBB2_266
; %bb.249:
	v_mov_b32_e32 v1, 0
	v_cmp_lt_i32_e32 vcc, 0, v59
	v_lshlrev_b32_e32 v5, 1, v43
	s_and_saveexec_b64 s[4:5], vcc
	s_cbranch_execz .LBB2_254
; %bb.250:
	buffer_load_dword v1, off, s[0:3], s33 offset:56
	buffer_load_dword v2, off, s[0:3], s33 offset:60
	v_mov_b32_e32 v3, v55
	v_lshlrev_b32_e64 v6, v5, 1
	v_mov_b32_e32 v7, v59
	v_mov_b32_e32 v4, v56
.LBB2_251:                              ; =>This Inner Loop Header: Depth=1
	s_waitcnt vmcnt(0)
	flat_load_dword v8, v[1:2]
	v_add_co_u32_e32 v1, vcc, 4, v1
	v_addc_co_u32_e32 v2, vcc, 0, v2, vcc
	v_add_u32_e32 v7, -1, v7
	v_cmp_eq_u32_e32 vcc, 0, v7
	s_or_b64 s[6:7], vcc, s[6:7]
	s_waitcnt vmcnt(0) lgkmcnt(0)
	v_or_b32_e32 v8, v8, v6
	flat_store_dword v[3:4], v8
	v_add_co_u32_e32 v3, vcc, 4, v3
	v_addc_co_u32_e32 v4, vcc, 0, v4, vcc
	s_andn2_b64 exec, exec, s[6:7]
	s_cbranch_execnz .LBB2_251
; %bb.252:
	s_or_b64 exec, exec, s[6:7]
	v_mov_b32_e32 v1, v59
	s_or_b64 exec, exec, s[4:5]
	v_cmp_lt_i32_e32 vcc, 0, v58
	s_and_saveexec_b64 s[4:5], vcc
	s_cbranch_execnz .LBB2_255
.LBB2_253:
	s_or_b64 exec, exec, s[4:5]
	v_cmp_lt_i32_e32 vcc, 0, v57
	s_and_saveexec_b64 s[4:5], vcc
	s_cbranch_execnz .LBB2_258
	s_branch .LBB2_261
.LBB2_254:
	s_or_b64 exec, exec, s[4:5]
	v_cmp_lt_i32_e32 vcc, 0, v58
	s_and_saveexec_b64 s[4:5], vcc
	s_cbranch_execz .LBB2_253
.LBB2_255:
	buffer_load_dword v3, off, s[0:3], s33 offset:72
	buffer_load_dword v4, off, s[0:3], s33 offset:76
	v_mov_b32_e32 v2, 0
	v_lshlrev_b32_e64 v7, v5, 2
	v_lshlrev_b64 v[5:6], 2, v[1:2]
	v_add_u32_e32 v1, v58, v1
	v_add_co_u32_e32 v5, vcc, v55, v5
	v_addc_co_u32_e32 v6, vcc, v56, v6, vcc
	s_mov_b64 s[6:7], 0
.LBB2_256:                              ; =>This Inner Loop Header: Depth=1
	s_waitcnt vmcnt(0)
	flat_load_dword v2, v[3:4]
	v_add_co_u32_e32 v3, vcc, 4, v3
	v_add_u32_e32 v58, -1, v58
	v_addc_co_u32_e32 v4, vcc, 0, v4, vcc
	v_cmp_eq_u32_e32 vcc, 0, v58
	s_or_b64 s[6:7], vcc, s[6:7]
	s_waitcnt vmcnt(0) lgkmcnt(0)
	v_or_b32_e32 v2, v2, v7
	flat_store_dword v[5:6], v2
	v_add_co_u32_e32 v5, vcc, 4, v5
	v_addc_co_u32_e32 v6, vcc, 0, v6, vcc
	s_andn2_b64 exec, exec, s[6:7]
	s_cbranch_execnz .LBB2_256
; %bb.257:
	s_or_b64 exec, exec, s[6:7]
	s_or_b64 exec, exec, s[4:5]
	v_cmp_lt_i32_e32 vcc, 0, v57
	s_and_saveexec_b64 s[4:5], vcc
	s_cbranch_execz .LBB2_261
.LBB2_258:
	buffer_load_dword v3, off, s[0:3], s33 offset:88
	buffer_load_dword v4, off, s[0:3], s33 offset:92
	v_mov_b32_e32 v2, 0
	v_lshlrev_b64 v[5:6], 2, v[1:2]
	v_add_u32_e32 v1, v1, v57
	v_add_co_u32_e32 v5, vcc, v55, v5
	v_addc_co_u32_e32 v6, vcc, v56, v6, vcc
	s_mov_b64 s[6:7], 0
.LBB2_259:                              ; =>This Inner Loop Header: Depth=1
	s_waitcnt vmcnt(0)
	flat_load_dword v2, v[3:4]
	v_add_co_u32_e32 v3, vcc, 4, v3
	v_add_u32_e32 v57, -1, v57
	v_addc_co_u32_e32 v4, vcc, 0, v4, vcc
	v_cmp_eq_u32_e32 vcc, 0, v57
	s_or_b64 s[6:7], vcc, s[6:7]
	s_waitcnt vmcnt(0) lgkmcnt(0)
	flat_store_dword v[5:6], v2
	v_add_co_u32_e32 v5, vcc, 4, v5
	v_addc_co_u32_e32 v6, vcc, 0, v6, vcc
	s_andn2_b64 exec, exec, s[6:7]
	s_cbranch_execnz .LBB2_259
; %bb.260:
	s_or_b64 exec, exec, s[6:7]
.LBB2_261:
	s_or_b64 exec, exec, s[4:5]
	flat_load_dword v2, v[41:42] offset:4
	s_mov_b64 s[4:5], s[40:41]
	s_waitcnt vmcnt(0) lgkmcnt(0)
	v_cmp_ne_u32_e32 vcc, v1, v2
	s_and_saveexec_b64 s[6:7], vcc
	s_xor_b64 s[42:43], exec, s[6:7]
	s_cbranch_execz .LBB2_263
; %bb.262:
	s_getpc_b64 s[4:5]
	s_add_u32 s4, s4, .str.23@rel32@lo+4
	s_addc_u32 s5, s5, .str.23@rel32@hi+12
	s_getpc_b64 s[6:7]
	s_add_u32 s6, s6, .str.16@rel32@lo+4
	s_addc_u32 s7, s7, .str.16@rel32@hi+12
	s_getpc_b64 s[10:11]
	s_add_u32 s10, s10, __PRETTY_FUNCTION__._ZN3sop14minatoIsop5RecEjjiPNS_3SopEP7VecsMemIjLi8192EE@rel32@lo+4
	s_addc_u32 s11, s11, __PRETTY_FUNCTION__._ZN3sop14minatoIsop5RecEjjiPNS_3SopEP7VecsMemIjLi8192EE@rel32@hi+12
	s_getpc_b64 s[12:13]
	s_add_u32 s12, s12, __assert_fail@rel32@lo+4
	s_addc_u32 s13, s13, __assert_fail@rel32@hi+12
	s_mov_b64 s[8:9], s[34:35]
	v_mov_b32_e32 v0, s4
	v_mov_b32_e32 v1, s5
	;; [unrolled: 1-line block ×7, first 2 shown]
	s_swappc_b64 s[30:31], s[12:13]
	s_or_b64 s[4:5], s[40:41], exec
                                        ; implicit-def: $vgpr43
                                        ; implicit-def: $vgpr46
                                        ; implicit-def: $vgpr47
                                        ; implicit-def: $vgpr0
.LBB2_263:
	s_or_saveexec_b64 s[6:7], s[42:43]
	s_mov_b64 s[8:9], 0
                                        ; implicit-def: $vgpr54
                                        ; implicit-def: $vgpr53
	s_xor_b64 exec, exec, s[6:7]
	s_cbranch_execz .LBB2_265
; %bb.264:
	v_mov_b32_e32 v44, 0
	v_lshlrev_b64 v[1:2], 2, v[43:44]
	s_getpc_b64 s[10:11]
	s_add_u32 s10, s10, __const._ZN3sop14minatoIsop5RecEjjiPNS_3SopEP7VecsMemIjLi8192EE.uMasks@rel32@lo+4
	s_addc_u32 s11, s11, __const._ZN3sop14minatoIsop5RecEjjiPNS_3SopEP7VecsMemIjLi8192EE.uMasks@rel32@hi+12
	v_mov_b32_e32 v3, s11
	v_add_co_u32_e32 v1, vcc, s10, v1
	v_addc_co_u32_e32 v2, vcc, v3, v2, vcc
	global_load_dword v1, v[1:2], off
	s_mov_b64 s[8:9], exec
	s_waitcnt vmcnt(0)
	v_bfi_b32 v2, v1, 0, v46
	v_and_b32_e32 v1, v1, v47
	v_or3_b32 v54, v1, v0, v2
	v_mov_b32_e32 v53, v54
.LBB2_265:
	s_or_b64 exec, exec, s[6:7]
	s_andn2_b64 s[6:7], s[40:41], exec
	s_and_b64 s[4:5], s[4:5], exec
	s_and_b64 s[42:43], s[8:9], exec
	s_or_b64 s[44:45], s[6:7], s[4:5]
.LBB2_266:
	s_andn2_saveexec_b64 s[28:29], s[28:29]
	s_cbranch_execz .LBB2_268
; %bb.267:
	s_getpc_b64 s[4:5]
	s_add_u32 s4, s4, .str.20@rel32@lo+4
	s_addc_u32 s5, s5, .str.20@rel32@hi+12
	s_getpc_b64 s[6:7]
	s_add_u32 s6, s6, .str.16@rel32@lo+4
	s_addc_u32 s7, s7, .str.16@rel32@hi+12
	s_getpc_b64 s[10:11]
	s_add_u32 s10, s10, __PRETTY_FUNCTION__._ZN3sop14minatoIsop5RecEjjiPNS_3SopEP7VecsMemIjLi8192EE@rel32@lo+4
	s_addc_u32 s11, s11, __PRETTY_FUNCTION__._ZN3sop14minatoIsop5RecEjjiPNS_3SopEP7VecsMemIjLi8192EE@rel32@hi+12
	s_getpc_b64 s[12:13]
	s_add_u32 s12, s12, __assert_fail@rel32@lo+4
	s_addc_u32 s13, s13, __assert_fail@rel32@hi+12
	s_mov_b64 s[8:9], s[34:35]
	v_mov_b32_e32 v0, s4
	v_mov_b32_e32 v1, s5
	;; [unrolled: 1-line block ×7, first 2 shown]
	s_swappc_b64 s[30:31], s[12:13]
	s_or_b64 s[44:45], s[44:45], exec
.LBB2_268:
	s_or_b64 exec, exec, s[28:29]
	s_andn2_b64 s[4:5], s[40:41], exec
	s_and_b64 s[8:9], s[44:45], exec
	s_and_b64 s[6:7], s[42:43], exec
	s_or_b64 s[40:41], s[4:5], s[8:9]
.LBB2_269:
	s_or_b64 exec, exec, s[26:27]
	s_and_b64 s[4:5], s[6:7], exec
	s_andn2_b64 s[6:7], s[52:53], exec
	s_and_b64 s[8:9], s[40:41], exec
	s_or_b64 s[52:53], s[6:7], s[8:9]
.LBB2_270:
	s_or_b64 exec, exec, s[54:55]
	s_and_b64 s[26:27], s[4:5], exec
	s_andn2_b64 s[4:5], s[36:37], exec
	s_and_b64 s[6:7], s[52:53], exec
	s_or_b64 s[28:29], s[4:5], s[6:7]
                                        ; implicit-def: $vgpr44_vgpr45
.LBB2_271:
	s_andn2_saveexec_b64 s[40:41], s[50:51]
	s_cbranch_execz .LBB2_415
; %bb.272:
	v_mov_b32_e32 v0, 0
	v_mov_b32_e32 v1, 1
	flat_store_dwordx2 v[41:42], v[0:1]
	flat_load_dword v1, v[44:45]
	s_movk_i32 s4, 0x2000
	s_mov_b64 s[42:43], s[26:27]
	s_waitcnt vmcnt(0) lgkmcnt(0)
	v_cmp_gt_i32_e32 vcc, s4, v1
	s_and_saveexec_b64 s[4:5], vcc
	s_xor_b64 s[4:5], exec, s[4:5]
	s_cbranch_execz .LBB2_274
; %bb.273:
	v_add_u32_e32 v2, 1, v1
	flat_store_dword v[44:45], v2
	v_ashrrev_i32_e32 v2, 31, v1
	v_lshlrev_b64 v[1:2], 2, v[1:2]
	s_or_b64 s[42:43], s[26:27], exec
	v_add_co_u32_e32 v1, vcc, v44, v1
	v_addc_co_u32_e32 v2, vcc, v45, v2, vcc
	v_add_co_u32_e32 v3, vcc, 4, v1
	v_addc_co_u32_e32 v4, vcc, 0, v2, vcc
	flat_store_dwordx2 v[41:42], v[3:4] offset:8
	flat_store_dword v[1:2], v0 offset:4
.LBB2_274:
	s_or_saveexec_b64 s[44:45], s[4:5]
	s_mov_b64 s[4:5], s[28:29]
	s_xor_b64 exec, exec, s[44:45]
	s_cbranch_execz .LBB2_414
; %bb.275:
	s_load_dwordx2 s[6:7], s[34:35], 0x50
	v_mbcnt_lo_u32_b32 v0, -1, 0
	v_mbcnt_hi_u32_b32 v30, -1, v0
	v_readfirstlane_b32 s4, v30
	v_mov_b32_e32 v5, 0
	v_mov_b32_e32 v6, 0
	v_cmp_eq_u32_e64 s[4:5], s4, v30
	s_and_saveexec_b64 s[8:9], s[4:5]
	s_cbranch_execz .LBB2_281
; %bb.276:
	v_mov_b32_e32 v0, 0
	s_waitcnt lgkmcnt(0)
	global_load_dwordx2 v[3:4], v0, s[6:7] offset:24 glc
	s_waitcnt vmcnt(0)
	buffer_wbinvl1_vol
	global_load_dwordx2 v[1:2], v0, s[6:7] offset:40
	global_load_dwordx2 v[5:6], v0, s[6:7]
	s_waitcnt vmcnt(1)
	v_and_b32_e32 v1, v1, v3
	v_and_b32_e32 v2, v2, v4
	v_mul_lo_u32 v2, v2, 24
	v_mul_hi_u32 v7, v1, 24
	v_mul_lo_u32 v1, v1, 24
	v_add_u32_e32 v2, v7, v2
	s_waitcnt vmcnt(0)
	v_add_co_u32_e32 v1, vcc, v5, v1
	v_addc_co_u32_e32 v2, vcc, v6, v2, vcc
	global_load_dwordx2 v[1:2], v[1:2], off glc
	s_waitcnt vmcnt(0)
	global_atomic_cmpswap_x2 v[5:6], v0, v[1:4], s[6:7] offset:24 glc
	s_waitcnt vmcnt(0)
	buffer_wbinvl1_vol
	v_cmp_ne_u64_e32 vcc, v[5:6], v[3:4]
	s_and_saveexec_b64 s[10:11], vcc
	s_cbranch_execz .LBB2_280
; %bb.277:
	s_mov_b64 s[12:13], 0
.LBB2_278:                              ; =>This Inner Loop Header: Depth=1
	s_sleep 1
	global_load_dwordx2 v[1:2], v0, s[6:7] offset:40
	global_load_dwordx2 v[7:8], v0, s[6:7]
	v_mov_b32_e32 v3, v5
	v_mov_b32_e32 v4, v6
	s_waitcnt vmcnt(1)
	v_and_b32_e32 v1, v1, v3
	s_waitcnt vmcnt(0)
	v_mad_u64_u32 v[5:6], s[14:15], v1, 24, v[7:8]
	v_and_b32_e32 v2, v2, v4
	v_mov_b32_e32 v1, v6
	v_mad_u64_u32 v[1:2], s[14:15], v2, 24, v[1:2]
	v_mov_b32_e32 v6, v1
	global_load_dwordx2 v[1:2], v[5:6], off glc
	s_waitcnt vmcnt(0)
	global_atomic_cmpswap_x2 v[5:6], v0, v[1:4], s[6:7] offset:24 glc
	s_waitcnt vmcnt(0)
	buffer_wbinvl1_vol
	v_cmp_eq_u64_e32 vcc, v[5:6], v[3:4]
	s_or_b64 s[12:13], vcc, s[12:13]
	s_andn2_b64 exec, exec, s[12:13]
	s_cbranch_execnz .LBB2_278
; %bb.279:
	s_or_b64 exec, exec, s[12:13]
.LBB2_280:
	s_or_b64 exec, exec, s[10:11]
.LBB2_281:
	s_or_b64 exec, exec, s[8:9]
	v_mov_b32_e32 v4, 0
	s_waitcnt lgkmcnt(0)
	global_load_dwordx2 v[7:8], v4, s[6:7] offset:40
	global_load_dwordx4 v[0:3], v4, s[6:7]
	v_readfirstlane_b32 s9, v6
	v_readfirstlane_b32 s8, v5
	s_mov_b64 s[10:11], exec
	s_waitcnt vmcnt(0)
	v_readfirstlane_b32 s12, v7
	v_readfirstlane_b32 s13, v8
	s_and_b64 s[12:13], s[12:13], s[8:9]
	s_mul_i32 s14, s13, 24
	s_mul_hi_u32 s15, s12, 24
	s_mul_i32 s16, s12, 24
	s_add_i32 s14, s15, s14
	v_mov_b32_e32 v5, s14
	v_add_co_u32_e32 v7, vcc, s16, v0
	v_addc_co_u32_e32 v8, vcc, v1, v5, vcc
	s_and_saveexec_b64 s[14:15], s[4:5]
	s_cbranch_execz .LBB2_283
; %bb.282:
	v_mov_b32_e32 v9, s10
	v_mov_b32_e32 v10, s11
	;; [unrolled: 1-line block ×4, first 2 shown]
	global_store_dwordx4 v[7:8], v[9:12], off offset:8
.LBB2_283:
	s_or_b64 exec, exec, s[14:15]
	s_lshl_b64 s[10:11], s[12:13], 12
	v_mov_b32_e32 v5, s11
	v_add_co_u32_e32 v2, vcc, s10, v2
	v_addc_co_u32_e32 v11, vcc, v3, v5, vcc
	v_lshlrev_b32_e32 v29, 6, v30
	s_mov_b32 s12, 0
	v_mov_b32_e32 v3, 33
	v_mov_b32_e32 v5, v4
	;; [unrolled: 1-line block ×3, first 2 shown]
	v_readfirstlane_b32 s10, v2
	v_readfirstlane_b32 s11, v11
	v_add_co_u32_e32 v9, vcc, v2, v29
	s_mov_b32 s13, s12
	s_mov_b32 s14, s12
	;; [unrolled: 1-line block ×3, first 2 shown]
	s_nop 0
	global_store_dwordx4 v29, v[3:6], s[10:11]
	v_mov_b32_e32 v2, s12
	v_addc_co_u32_e32 v10, vcc, 0, v11, vcc
	v_mov_b32_e32 v3, s13
	v_mov_b32_e32 v4, s14
	;; [unrolled: 1-line block ×3, first 2 shown]
	global_store_dwordx4 v29, v[2:5], s[10:11] offset:16
	global_store_dwordx4 v29, v[2:5], s[10:11] offset:32
	;; [unrolled: 1-line block ×3, first 2 shown]
	s_and_saveexec_b64 s[10:11], s[4:5]
	s_cbranch_execz .LBB2_291
; %bb.284:
	v_mov_b32_e32 v6, 0
	global_load_dwordx2 v[13:14], v6, s[6:7] offset:32 glc
	global_load_dwordx2 v[2:3], v6, s[6:7] offset:40
	v_mov_b32_e32 v11, s8
	v_mov_b32_e32 v12, s9
	s_waitcnt vmcnt(0)
	v_and_b32_e32 v2, s8, v2
	v_and_b32_e32 v3, s9, v3
	v_mul_lo_u32 v3, v3, 24
	v_mul_hi_u32 v4, v2, 24
	v_mul_lo_u32 v2, v2, 24
	v_add_u32_e32 v3, v4, v3
	v_add_co_u32_e32 v4, vcc, v0, v2
	v_addc_co_u32_e32 v5, vcc, v1, v3, vcc
	global_store_dwordx2 v[4:5], v[13:14], off
	s_waitcnt vmcnt(0)
	global_atomic_cmpswap_x2 v[2:3], v6, v[11:14], s[6:7] offset:32 glc
	s_waitcnt vmcnt(0)
	v_cmp_ne_u64_e32 vcc, v[2:3], v[13:14]
	s_and_saveexec_b64 s[12:13], vcc
	s_cbranch_execz .LBB2_287
; %bb.285:
	s_mov_b64 s[14:15], 0
.LBB2_286:                              ; =>This Inner Loop Header: Depth=1
	s_sleep 1
	global_store_dwordx2 v[4:5], v[2:3], off
	v_mov_b32_e32 v0, s8
	v_mov_b32_e32 v1, s9
	s_waitcnt vmcnt(0)
	global_atomic_cmpswap_x2 v[0:1], v6, v[0:3], s[6:7] offset:32 glc
	s_waitcnt vmcnt(0)
	v_cmp_eq_u64_e32 vcc, v[0:1], v[2:3]
	v_mov_b32_e32 v3, v1
	s_or_b64 s[14:15], vcc, s[14:15]
	v_mov_b32_e32 v2, v0
	s_andn2_b64 exec, exec, s[14:15]
	s_cbranch_execnz .LBB2_286
.LBB2_287:
	s_or_b64 exec, exec, s[12:13]
	v_mov_b32_e32 v3, 0
	global_load_dwordx2 v[0:1], v3, s[6:7] offset:16
	s_mov_b64 s[12:13], exec
	v_mbcnt_lo_u32_b32 v2, s12, 0
	v_mbcnt_hi_u32_b32 v2, s13, v2
	v_cmp_eq_u32_e32 vcc, 0, v2
	s_and_saveexec_b64 s[14:15], vcc
	s_cbranch_execz .LBB2_289
; %bb.288:
	s_bcnt1_i32_b64 s12, s[12:13]
	v_mov_b32_e32 v2, s12
	s_waitcnt vmcnt(0)
	global_atomic_add_x2 v[0:1], v[2:3], off offset:8
.LBB2_289:
	s_or_b64 exec, exec, s[14:15]
	s_waitcnt vmcnt(0)
	global_load_dwordx2 v[2:3], v[0:1], off offset:16
	s_waitcnt vmcnt(0)
	v_cmp_eq_u64_e32 vcc, 0, v[2:3]
	s_cbranch_vccnz .LBB2_291
; %bb.290:
	global_load_dword v0, v[0:1], off offset:24
	v_mov_b32_e32 v1, 0
	s_waitcnt vmcnt(0)
	v_readfirstlane_b32 s12, v0
	s_and_b32 m0, s12, 0xffffff
	global_store_dwordx2 v[2:3], v[0:1], off
	s_sendmsg sendmsg(MSG_INTERRUPT)
.LBB2_291:
	s_or_b64 exec, exec, s[10:11]
	s_branch .LBB2_293
.LBB2_292:
	s_branch .LBB2_297
.LBB2_293:                              ; =>This Inner Loop Header: Depth=1
	v_mov_b32_e32 v0, 1
	s_and_saveexec_b64 s[10:11], s[4:5]
	s_cbranch_execz .LBB2_295
; %bb.294:                              ;   in Loop: Header=BB2_293 Depth=1
	global_load_dword v0, v[7:8], off offset:20 glc
	s_waitcnt vmcnt(0)
	buffer_wbinvl1_vol
	v_and_b32_e32 v0, 1, v0
.LBB2_295:                              ;   in Loop: Header=BB2_293 Depth=1
	s_or_b64 exec, exec, s[10:11]
	v_readfirstlane_b32 s10, v0
	s_cmp_eq_u32 s10, 0
	s_cbranch_scc1 .LBB2_292
; %bb.296:                              ;   in Loop: Header=BB2_293 Depth=1
	s_sleep 1
	s_cbranch_execnz .LBB2_293
.LBB2_297:
	global_load_dwordx2 v[0:1], v[9:10], off
	s_and_saveexec_b64 s[10:11], s[4:5]
	s_cbranch_execz .LBB2_300
; %bb.298:
	v_mov_b32_e32 v8, 0
	global_load_dwordx2 v[2:3], v8, s[6:7] offset:40
	global_load_dwordx2 v[11:12], v8, s[6:7] offset:24 glc
	global_load_dwordx2 v[4:5], v8, s[6:7]
	s_waitcnt vmcnt(2)
	v_readfirstlane_b32 s12, v2
	v_readfirstlane_b32 s13, v3
	s_add_u32 s14, s12, 1
	s_addc_u32 s15, s13, 0
	s_add_u32 s4, s14, s8
	s_addc_u32 s5, s15, s9
	s_cmp_eq_u64 s[4:5], 0
	s_cselect_b32 s5, s15, s5
	s_cselect_b32 s4, s14, s4
	s_and_b64 s[8:9], s[4:5], s[12:13]
	s_mul_i32 s9, s9, 24
	s_mul_hi_u32 s12, s8, 24
	s_mul_i32 s8, s8, 24
	s_add_i32 s9, s12, s9
	v_mov_b32_e32 v2, s9
	s_waitcnt vmcnt(0)
	v_add_co_u32_e32 v6, vcc, s8, v4
	v_addc_co_u32_e32 v7, vcc, v5, v2, vcc
	v_mov_b32_e32 v9, s4
	global_store_dwordx2 v[6:7], v[11:12], off
	v_mov_b32_e32 v10, s5
	s_waitcnt vmcnt(0)
	global_atomic_cmpswap_x2 v[4:5], v8, v[9:12], s[6:7] offset:24 glc
	s_mov_b64 s[8:9], 0
	s_waitcnt vmcnt(0)
	v_cmp_ne_u64_e32 vcc, v[4:5], v[11:12]
	s_and_b64 exec, exec, vcc
	s_cbranch_execz .LBB2_300
.LBB2_299:                              ; =>This Inner Loop Header: Depth=1
	s_sleep 1
	global_store_dwordx2 v[6:7], v[4:5], off
	v_mov_b32_e32 v2, s4
	v_mov_b32_e32 v3, s5
	s_waitcnt vmcnt(0)
	global_atomic_cmpswap_x2 v[2:3], v8, v[2:5], s[6:7] offset:24 glc
	s_waitcnt vmcnt(0)
	v_cmp_eq_u64_e32 vcc, v[2:3], v[4:5]
	v_mov_b32_e32 v5, v3
	s_or_b64 s[8:9], vcc, s[8:9]
	v_mov_b32_e32 v4, v2
	s_andn2_b64 exec, exec, s[8:9]
	s_cbranch_execnz .LBB2_299
.LBB2_300:
	s_or_b64 exec, exec, s[10:11]
	s_getpc_b64 s[8:9]
	s_add_u32 s8, s8, .str.28@rel32@lo+4
	s_addc_u32 s9, s9, .str.28@rel32@hi+12
	s_cmp_lg_u64 s[8:9], 0
	s_cbranch_scc0 .LBB2_386
; %bb.301:
	s_waitcnt vmcnt(0)
	v_and_b32_e32 v6, -3, v0
	v_mov_b32_e32 v7, v1
	s_mov_b64 s[10:11], 35
	v_mov_b32_e32 v26, 0
	v_mov_b32_e32 v4, 2
	v_mov_b32_e32 v5, 1
	s_branch .LBB2_303
.LBB2_302:                              ;   in Loop: Header=BB2_303 Depth=1
	s_or_b64 exec, exec, s[16:17]
	s_sub_u32 s10, s10, s12
	s_subb_u32 s11, s11, s13
	s_add_u32 s8, s8, s12
	s_addc_u32 s9, s9, s13
	s_cmp_lg_u64 s[10:11], 0
	s_cbranch_scc0 .LBB2_385
.LBB2_303:                              ; =>This Loop Header: Depth=1
                                        ;     Child Loop BB2_306 Depth 2
                                        ;     Child Loop BB2_314 Depth 2
	;; [unrolled: 1-line block ×11, first 2 shown]
	v_cmp_lt_u64_e64 s[4:5], s[10:11], 56
	v_cmp_gt_u64_e64 s[14:15], s[10:11], 7
	s_and_b64 s[4:5], s[4:5], exec
	s_cselect_b32 s13, s11, 0
	s_cselect_b32 s12, s10, 56
	s_add_u32 s4, s8, 8
	s_addc_u32 s5, s9, 0
	s_and_b64 vcc, exec, s[14:15]
	s_cbranch_vccnz .LBB2_307
; %bb.304:                              ;   in Loop: Header=BB2_303 Depth=1
	s_cmp_eq_u64 s[10:11], 0
	s_cbranch_scc1 .LBB2_308
; %bb.305:                              ;   in Loop: Header=BB2_303 Depth=1
	s_waitcnt vmcnt(0)
	v_mov_b32_e32 v8, 0
	s_lshl_b64 s[4:5], s[12:13], 3
	s_mov_b64 s[14:15], 0
	v_mov_b32_e32 v9, 0
	s_mov_b64 s[16:17], s[8:9]
.LBB2_306:                              ;   Parent Loop BB2_303 Depth=1
                                        ; =>  This Inner Loop Header: Depth=2
	global_load_ubyte v2, v26, s[16:17]
	s_waitcnt vmcnt(0)
	v_and_b32_e32 v25, 0xffff, v2
	v_lshlrev_b64 v[2:3], s14, v[25:26]
	s_add_u32 s14, s14, 8
	s_addc_u32 s15, s15, 0
	s_add_u32 s16, s16, 1
	s_addc_u32 s17, s17, 0
	v_or_b32_e32 v8, v2, v8
	s_cmp_lg_u32 s4, s14
	v_or_b32_e32 v9, v3, v9
	s_cbranch_scc1 .LBB2_306
	s_branch .LBB2_309
.LBB2_307:                              ;   in Loop: Header=BB2_303 Depth=1
	s_mov_b32 s18, 0
	s_branch .LBB2_310
.LBB2_308:                              ;   in Loop: Header=BB2_303 Depth=1
	s_waitcnt vmcnt(0)
	v_mov_b32_e32 v8, 0
	v_mov_b32_e32 v9, 0
.LBB2_309:                              ;   in Loop: Header=BB2_303 Depth=1
	s_mov_b64 s[4:5], s[8:9]
	s_mov_b32 s18, 0
	s_cbranch_execnz .LBB2_311
.LBB2_310:                              ;   in Loop: Header=BB2_303 Depth=1
	global_load_dwordx2 v[8:9], v26, s[8:9]
	s_add_i32 s18, s12, -8
.LBB2_311:                              ;   in Loop: Header=BB2_303 Depth=1
	s_add_u32 s14, s4, 8
	s_addc_u32 s15, s5, 0
	s_cmp_gt_u32 s18, 7
	s_cbranch_scc1 .LBB2_315
; %bb.312:                              ;   in Loop: Header=BB2_303 Depth=1
	s_cmp_eq_u32 s18, 0
	s_cbranch_scc1 .LBB2_316
; %bb.313:                              ;   in Loop: Header=BB2_303 Depth=1
	v_mov_b32_e32 v10, 0
	s_mov_b64 s[14:15], 0
	v_mov_b32_e32 v11, 0
	s_mov_b64 s[16:17], 0
.LBB2_314:                              ;   Parent Loop BB2_303 Depth=1
                                        ; =>  This Inner Loop Header: Depth=2
	s_add_u32 s20, s4, s16
	s_addc_u32 s21, s5, s17
	global_load_ubyte v2, v26, s[20:21]
	s_add_u32 s16, s16, 1
	s_addc_u32 s17, s17, 0
	s_waitcnt vmcnt(0)
	v_and_b32_e32 v25, 0xffff, v2
	v_lshlrev_b64 v[2:3], s14, v[25:26]
	s_add_u32 s14, s14, 8
	s_addc_u32 s15, s15, 0
	v_or_b32_e32 v10, v2, v10
	s_cmp_lg_u32 s18, s16
	v_or_b32_e32 v11, v3, v11
	s_cbranch_scc1 .LBB2_314
	s_branch .LBB2_317
.LBB2_315:                              ;   in Loop: Header=BB2_303 Depth=1
                                        ; implicit-def: $vgpr10_vgpr11
	s_mov_b32 s19, 0
	s_branch .LBB2_318
.LBB2_316:                              ;   in Loop: Header=BB2_303 Depth=1
	v_mov_b32_e32 v10, 0
	v_mov_b32_e32 v11, 0
.LBB2_317:                              ;   in Loop: Header=BB2_303 Depth=1
	s_mov_b64 s[14:15], s[4:5]
	s_mov_b32 s19, 0
	s_cbranch_execnz .LBB2_319
.LBB2_318:                              ;   in Loop: Header=BB2_303 Depth=1
	global_load_dwordx2 v[10:11], v26, s[4:5]
	s_add_i32 s19, s18, -8
.LBB2_319:                              ;   in Loop: Header=BB2_303 Depth=1
	s_add_u32 s4, s14, 8
	s_addc_u32 s5, s15, 0
	s_cmp_gt_u32 s19, 7
	s_cbranch_scc1 .LBB2_323
; %bb.320:                              ;   in Loop: Header=BB2_303 Depth=1
	s_cmp_eq_u32 s19, 0
	s_cbranch_scc1 .LBB2_324
; %bb.321:                              ;   in Loop: Header=BB2_303 Depth=1
	v_mov_b32_e32 v12, 0
	s_mov_b64 s[4:5], 0
	v_mov_b32_e32 v13, 0
	s_mov_b64 s[16:17], 0
.LBB2_322:                              ;   Parent Loop BB2_303 Depth=1
                                        ; =>  This Inner Loop Header: Depth=2
	s_add_u32 s20, s14, s16
	s_addc_u32 s21, s15, s17
	global_load_ubyte v2, v26, s[20:21]
	s_add_u32 s16, s16, 1
	s_addc_u32 s17, s17, 0
	s_waitcnt vmcnt(0)
	v_and_b32_e32 v25, 0xffff, v2
	v_lshlrev_b64 v[2:3], s4, v[25:26]
	s_add_u32 s4, s4, 8
	s_addc_u32 s5, s5, 0
	v_or_b32_e32 v12, v2, v12
	s_cmp_lg_u32 s19, s16
	v_or_b32_e32 v13, v3, v13
	s_cbranch_scc1 .LBB2_322
	s_branch .LBB2_325
.LBB2_323:                              ;   in Loop: Header=BB2_303 Depth=1
	s_mov_b32 s18, 0
	s_branch .LBB2_326
.LBB2_324:                              ;   in Loop: Header=BB2_303 Depth=1
	v_mov_b32_e32 v12, 0
	v_mov_b32_e32 v13, 0
.LBB2_325:                              ;   in Loop: Header=BB2_303 Depth=1
	s_mov_b64 s[4:5], s[14:15]
	s_mov_b32 s18, 0
	s_cbranch_execnz .LBB2_327
.LBB2_326:                              ;   in Loop: Header=BB2_303 Depth=1
	global_load_dwordx2 v[12:13], v26, s[14:15]
	s_add_i32 s18, s19, -8
.LBB2_327:                              ;   in Loop: Header=BB2_303 Depth=1
	s_add_u32 s14, s4, 8
	s_addc_u32 s15, s5, 0
	s_cmp_gt_u32 s18, 7
	s_cbranch_scc1 .LBB2_331
; %bb.328:                              ;   in Loop: Header=BB2_303 Depth=1
	s_cmp_eq_u32 s18, 0
	s_cbranch_scc1 .LBB2_332
; %bb.329:                              ;   in Loop: Header=BB2_303 Depth=1
	v_mov_b32_e32 v14, 0
	s_mov_b64 s[14:15], 0
	v_mov_b32_e32 v15, 0
	s_mov_b64 s[16:17], 0
.LBB2_330:                              ;   Parent Loop BB2_303 Depth=1
                                        ; =>  This Inner Loop Header: Depth=2
	s_add_u32 s20, s4, s16
	s_addc_u32 s21, s5, s17
	global_load_ubyte v2, v26, s[20:21]
	s_add_u32 s16, s16, 1
	s_addc_u32 s17, s17, 0
	s_waitcnt vmcnt(0)
	v_and_b32_e32 v25, 0xffff, v2
	v_lshlrev_b64 v[2:3], s14, v[25:26]
	s_add_u32 s14, s14, 8
	s_addc_u32 s15, s15, 0
	v_or_b32_e32 v14, v2, v14
	s_cmp_lg_u32 s18, s16
	v_or_b32_e32 v15, v3, v15
	s_cbranch_scc1 .LBB2_330
	s_branch .LBB2_333
.LBB2_331:                              ;   in Loop: Header=BB2_303 Depth=1
                                        ; implicit-def: $vgpr14_vgpr15
	s_mov_b32 s19, 0
	s_branch .LBB2_334
.LBB2_332:                              ;   in Loop: Header=BB2_303 Depth=1
	v_mov_b32_e32 v14, 0
	v_mov_b32_e32 v15, 0
.LBB2_333:                              ;   in Loop: Header=BB2_303 Depth=1
	s_mov_b64 s[14:15], s[4:5]
	s_mov_b32 s19, 0
	s_cbranch_execnz .LBB2_335
.LBB2_334:                              ;   in Loop: Header=BB2_303 Depth=1
	global_load_dwordx2 v[14:15], v26, s[4:5]
	s_add_i32 s19, s18, -8
.LBB2_335:                              ;   in Loop: Header=BB2_303 Depth=1
	s_add_u32 s4, s14, 8
	s_addc_u32 s5, s15, 0
	s_cmp_gt_u32 s19, 7
	s_cbranch_scc1 .LBB2_339
; %bb.336:                              ;   in Loop: Header=BB2_303 Depth=1
	s_cmp_eq_u32 s19, 0
	s_cbranch_scc1 .LBB2_340
; %bb.337:                              ;   in Loop: Header=BB2_303 Depth=1
	v_mov_b32_e32 v16, 0
	s_mov_b64 s[4:5], 0
	v_mov_b32_e32 v17, 0
	s_mov_b64 s[16:17], 0
.LBB2_338:                              ;   Parent Loop BB2_303 Depth=1
                                        ; =>  This Inner Loop Header: Depth=2
	s_add_u32 s20, s14, s16
	s_addc_u32 s21, s15, s17
	global_load_ubyte v2, v26, s[20:21]
	s_add_u32 s16, s16, 1
	s_addc_u32 s17, s17, 0
	s_waitcnt vmcnt(0)
	v_and_b32_e32 v25, 0xffff, v2
	v_lshlrev_b64 v[2:3], s4, v[25:26]
	s_add_u32 s4, s4, 8
	s_addc_u32 s5, s5, 0
	v_or_b32_e32 v16, v2, v16
	s_cmp_lg_u32 s19, s16
	v_or_b32_e32 v17, v3, v17
	s_cbranch_scc1 .LBB2_338
	s_branch .LBB2_341
.LBB2_339:                              ;   in Loop: Header=BB2_303 Depth=1
	s_mov_b32 s18, 0
	s_branch .LBB2_342
.LBB2_340:                              ;   in Loop: Header=BB2_303 Depth=1
	v_mov_b32_e32 v16, 0
	v_mov_b32_e32 v17, 0
.LBB2_341:                              ;   in Loop: Header=BB2_303 Depth=1
	s_mov_b64 s[4:5], s[14:15]
	s_mov_b32 s18, 0
	s_cbranch_execnz .LBB2_343
.LBB2_342:                              ;   in Loop: Header=BB2_303 Depth=1
	global_load_dwordx2 v[16:17], v26, s[14:15]
	s_add_i32 s18, s19, -8
.LBB2_343:                              ;   in Loop: Header=BB2_303 Depth=1
	s_add_u32 s14, s4, 8
	s_addc_u32 s15, s5, 0
	s_cmp_gt_u32 s18, 7
	s_cbranch_scc1 .LBB2_347
; %bb.344:                              ;   in Loop: Header=BB2_303 Depth=1
	s_cmp_eq_u32 s18, 0
	s_cbranch_scc1 .LBB2_348
; %bb.345:                              ;   in Loop: Header=BB2_303 Depth=1
	v_mov_b32_e32 v18, 0
	s_mov_b64 s[14:15], 0
	v_mov_b32_e32 v19, 0
	s_mov_b64 s[16:17], 0
.LBB2_346:                              ;   Parent Loop BB2_303 Depth=1
                                        ; =>  This Inner Loop Header: Depth=2
	s_add_u32 s20, s4, s16
	s_addc_u32 s21, s5, s17
	global_load_ubyte v2, v26, s[20:21]
	s_add_u32 s16, s16, 1
	s_addc_u32 s17, s17, 0
	s_waitcnt vmcnt(0)
	v_and_b32_e32 v25, 0xffff, v2
	v_lshlrev_b64 v[2:3], s14, v[25:26]
	s_add_u32 s14, s14, 8
	s_addc_u32 s15, s15, 0
	v_or_b32_e32 v18, v2, v18
	s_cmp_lg_u32 s18, s16
	v_or_b32_e32 v19, v3, v19
	s_cbranch_scc1 .LBB2_346
	s_branch .LBB2_349
.LBB2_347:                              ;   in Loop: Header=BB2_303 Depth=1
                                        ; implicit-def: $vgpr18_vgpr19
	s_mov_b32 s19, 0
	s_branch .LBB2_350
.LBB2_348:                              ;   in Loop: Header=BB2_303 Depth=1
	v_mov_b32_e32 v18, 0
	v_mov_b32_e32 v19, 0
.LBB2_349:                              ;   in Loop: Header=BB2_303 Depth=1
	s_mov_b64 s[14:15], s[4:5]
	s_mov_b32 s19, 0
	s_cbranch_execnz .LBB2_351
.LBB2_350:                              ;   in Loop: Header=BB2_303 Depth=1
	global_load_dwordx2 v[18:19], v26, s[4:5]
	s_add_i32 s19, s18, -8
.LBB2_351:                              ;   in Loop: Header=BB2_303 Depth=1
	s_cmp_gt_u32 s19, 7
	s_cbranch_scc1 .LBB2_383
; %bb.352:                              ;   in Loop: Header=BB2_303 Depth=1
	s_cmp_eq_u32 s19, 0
	s_cbranch_scc1 .LBB2_384
; %bb.353:                              ;   in Loop: Header=BB2_303 Depth=1
	v_mov_b32_e32 v20, 0
	s_mov_b64 s[4:5], 0
	v_mov_b32_e32 v21, 0
	s_mov_b64 s[16:17], s[14:15]
.LBB2_354:                              ;   Parent Loop BB2_303 Depth=1
                                        ; =>  This Inner Loop Header: Depth=2
	global_load_ubyte v2, v26, s[16:17]
	s_add_i32 s19, s19, -1
	s_waitcnt vmcnt(0)
	v_and_b32_e32 v25, 0xffff, v2
	v_lshlrev_b64 v[2:3], s4, v[25:26]
	s_add_u32 s4, s4, 8
	s_addc_u32 s5, s5, 0
	s_add_u32 s16, s16, 1
	s_addc_u32 s17, s17, 0
	v_or_b32_e32 v20, v2, v20
	s_cmp_lg_u32 s19, 0
	v_or_b32_e32 v21, v3, v21
	s_cbranch_scc1 .LBB2_354
; %bb.355:                              ;   in Loop: Header=BB2_303 Depth=1
	s_cbranch_execnz .LBB2_357
.LBB2_356:                              ;   in Loop: Header=BB2_303 Depth=1
	global_load_dwordx2 v[20:21], v26, s[14:15]
.LBB2_357:                              ;   in Loop: Header=BB2_303 Depth=1
	v_readfirstlane_b32 s4, v30
	v_mov_b32_e32 v2, 0
	v_mov_b32_e32 v3, 0
	v_cmp_eq_u32_e64 s[4:5], s4, v30
	s_and_saveexec_b64 s[14:15], s[4:5]
	s_cbranch_execz .LBB2_363
; %bb.358:                              ;   in Loop: Header=BB2_303 Depth=1
	global_load_dwordx2 v[24:25], v26, s[6:7] offset:24 glc
	s_waitcnt vmcnt(0)
	buffer_wbinvl1_vol
	global_load_dwordx2 v[2:3], v26, s[6:7] offset:40
	global_load_dwordx2 v[22:23], v26, s[6:7]
	s_waitcnt vmcnt(1)
	v_and_b32_e32 v2, v2, v24
	v_and_b32_e32 v3, v3, v25
	v_mul_lo_u32 v3, v3, 24
	v_mul_hi_u32 v27, v2, 24
	v_mul_lo_u32 v2, v2, 24
	v_add_u32_e32 v3, v27, v3
	s_waitcnt vmcnt(0)
	v_add_co_u32_e32 v2, vcc, v22, v2
	v_addc_co_u32_e32 v3, vcc, v23, v3, vcc
	global_load_dwordx2 v[22:23], v[2:3], off glc
	s_waitcnt vmcnt(0)
	global_atomic_cmpswap_x2 v[2:3], v26, v[22:25], s[6:7] offset:24 glc
	s_waitcnt vmcnt(0)
	buffer_wbinvl1_vol
	v_cmp_ne_u64_e32 vcc, v[2:3], v[24:25]
	s_and_saveexec_b64 s[16:17], vcc
	s_cbranch_execz .LBB2_362
; %bb.359:                              ;   in Loop: Header=BB2_303 Depth=1
	s_mov_b64 s[18:19], 0
.LBB2_360:                              ;   Parent Loop BB2_303 Depth=1
                                        ; =>  This Inner Loop Header: Depth=2
	s_sleep 1
	global_load_dwordx2 v[22:23], v26, s[6:7] offset:40
	global_load_dwordx2 v[27:28], v26, s[6:7]
	v_mov_b32_e32 v25, v3
	v_mov_b32_e32 v24, v2
	s_waitcnt vmcnt(1)
	v_and_b32_e32 v2, v22, v24
	s_waitcnt vmcnt(0)
	v_mad_u64_u32 v[2:3], s[20:21], v2, 24, v[27:28]
	v_and_b32_e32 v22, v23, v25
	v_mad_u64_u32 v[22:23], s[20:21], v22, 24, v[3:4]
	v_mov_b32_e32 v3, v22
	global_load_dwordx2 v[22:23], v[2:3], off glc
	s_waitcnt vmcnt(0)
	global_atomic_cmpswap_x2 v[2:3], v26, v[22:25], s[6:7] offset:24 glc
	s_waitcnt vmcnt(0)
	buffer_wbinvl1_vol
	v_cmp_eq_u64_e32 vcc, v[2:3], v[24:25]
	s_or_b64 s[18:19], vcc, s[18:19]
	s_andn2_b64 exec, exec, s[18:19]
	s_cbranch_execnz .LBB2_360
; %bb.361:                              ;   in Loop: Header=BB2_303 Depth=1
	s_or_b64 exec, exec, s[18:19]
.LBB2_362:                              ;   in Loop: Header=BB2_303 Depth=1
	s_or_b64 exec, exec, s[16:17]
.LBB2_363:                              ;   in Loop: Header=BB2_303 Depth=1
	s_or_b64 exec, exec, s[14:15]
	global_load_dwordx2 v[27:28], v26, s[6:7] offset:40
	global_load_dwordx4 v[22:25], v26, s[6:7]
	v_readfirstlane_b32 s15, v3
	v_readfirstlane_b32 s14, v2
	s_mov_b64 s[16:17], exec
	s_waitcnt vmcnt(1)
	v_readfirstlane_b32 s18, v27
	v_readfirstlane_b32 s19, v28
	s_and_b64 s[18:19], s[18:19], s[14:15]
	s_mul_i32 s20, s19, 24
	s_mul_hi_u32 s21, s18, 24
	s_mul_i32 s22, s18, 24
	s_add_i32 s20, s21, s20
	v_mov_b32_e32 v2, s20
	s_waitcnt vmcnt(0)
	v_add_co_u32_e32 v27, vcc, s22, v22
	v_addc_co_u32_e32 v28, vcc, v23, v2, vcc
	s_and_saveexec_b64 s[20:21], s[4:5]
	s_cbranch_execz .LBB2_365
; %bb.364:                              ;   in Loop: Header=BB2_303 Depth=1
	v_mov_b32_e32 v2, s16
	v_mov_b32_e32 v3, s17
	global_store_dwordx4 v[27:28], v[2:5], off offset:8
.LBB2_365:                              ;   in Loop: Header=BB2_303 Depth=1
	s_or_b64 exec, exec, s[20:21]
	s_lshl_b64 s[16:17], s[18:19], 12
	v_cmp_gt_u64_e64 s[18:19], s[10:11], 56
	v_mov_b32_e32 v2, s17
	v_add_co_u32_e32 v24, vcc, s16, v24
	s_and_b64 s[16:17], s[18:19], exec
	s_cselect_b32 s16, 0, 2
	s_lshl_b32 s17, s12, 2
	v_addc_co_u32_e32 v31, vcc, v25, v2, vcc
	s_add_i32 s17, s17, 28
	v_and_b32_e32 v2, 0xffffff1f, v6
	s_and_b32 s17, s17, 0x1e0
	v_or_b32_e32 v2, s16, v2
	v_or_b32_e32 v6, s17, v2
	v_readfirstlane_b32 s16, v24
	v_readfirstlane_b32 s17, v31
	s_nop 4
	global_store_dwordx4 v29, v[6:9], s[16:17]
	global_store_dwordx4 v29, v[10:13], s[16:17] offset:16
	global_store_dwordx4 v29, v[14:17], s[16:17] offset:32
	;; [unrolled: 1-line block ×3, first 2 shown]
	s_and_saveexec_b64 s[16:17], s[4:5]
	s_cbranch_execz .LBB2_373
; %bb.366:                              ;   in Loop: Header=BB2_303 Depth=1
	global_load_dwordx2 v[10:11], v26, s[6:7] offset:32 glc
	global_load_dwordx2 v[2:3], v26, s[6:7] offset:40
	v_mov_b32_e32 v8, s14
	v_mov_b32_e32 v9, s15
	s_waitcnt vmcnt(0)
	v_readfirstlane_b32 s18, v2
	v_readfirstlane_b32 s19, v3
	s_and_b64 s[18:19], s[18:19], s[14:15]
	s_mul_i32 s19, s19, 24
	s_mul_hi_u32 s20, s18, 24
	s_mul_i32 s18, s18, 24
	s_add_i32 s19, s20, s19
	v_mov_b32_e32 v3, s19
	v_add_co_u32_e32 v2, vcc, s18, v22
	v_addc_co_u32_e32 v3, vcc, v23, v3, vcc
	global_store_dwordx2 v[2:3], v[10:11], off
	s_waitcnt vmcnt(0)
	global_atomic_cmpswap_x2 v[8:9], v26, v[8:11], s[6:7] offset:32 glc
	s_waitcnt vmcnt(0)
	v_cmp_ne_u64_e32 vcc, v[8:9], v[10:11]
	s_and_saveexec_b64 s[18:19], vcc
	s_cbranch_execz .LBB2_369
; %bb.367:                              ;   in Loop: Header=BB2_303 Depth=1
	s_mov_b64 s[20:21], 0
.LBB2_368:                              ;   Parent Loop BB2_303 Depth=1
                                        ; =>  This Inner Loop Header: Depth=2
	s_sleep 1
	global_store_dwordx2 v[2:3], v[8:9], off
	v_mov_b32_e32 v6, s14
	v_mov_b32_e32 v7, s15
	s_waitcnt vmcnt(0)
	global_atomic_cmpswap_x2 v[6:7], v26, v[6:9], s[6:7] offset:32 glc
	s_waitcnt vmcnt(0)
	v_cmp_eq_u64_e32 vcc, v[6:7], v[8:9]
	v_mov_b32_e32 v9, v7
	s_or_b64 s[20:21], vcc, s[20:21]
	v_mov_b32_e32 v8, v6
	s_andn2_b64 exec, exec, s[20:21]
	s_cbranch_execnz .LBB2_368
.LBB2_369:                              ;   in Loop: Header=BB2_303 Depth=1
	s_or_b64 exec, exec, s[18:19]
	global_load_dwordx2 v[2:3], v26, s[6:7] offset:16
	s_mov_b64 s[20:21], exec
	v_mbcnt_lo_u32_b32 v6, s20, 0
	v_mbcnt_hi_u32_b32 v6, s21, v6
	v_cmp_eq_u32_e32 vcc, 0, v6
	s_and_saveexec_b64 s[18:19], vcc
	s_cbranch_execz .LBB2_371
; %bb.370:                              ;   in Loop: Header=BB2_303 Depth=1
	s_bcnt1_i32_b64 s20, s[20:21]
	v_mov_b32_e32 v25, s20
	s_waitcnt vmcnt(0)
	global_atomic_add_x2 v[2:3], v[25:26], off offset:8
.LBB2_371:                              ;   in Loop: Header=BB2_303 Depth=1
	s_or_b64 exec, exec, s[18:19]
	s_waitcnt vmcnt(0)
	global_load_dwordx2 v[6:7], v[2:3], off offset:16
	s_waitcnt vmcnt(0)
	v_cmp_eq_u64_e32 vcc, 0, v[6:7]
	s_cbranch_vccnz .LBB2_373
; %bb.372:                              ;   in Loop: Header=BB2_303 Depth=1
	global_load_dword v25, v[2:3], off offset:24
	s_waitcnt vmcnt(0)
	v_readfirstlane_b32 s18, v25
	s_and_b32 m0, s18, 0xffffff
	global_store_dwordx2 v[6:7], v[25:26], off
	s_sendmsg sendmsg(MSG_INTERRUPT)
.LBB2_373:                              ;   in Loop: Header=BB2_303 Depth=1
	s_or_b64 exec, exec, s[16:17]
	v_add_co_u32_e32 v2, vcc, v24, v29
	v_addc_co_u32_e32 v3, vcc, 0, v31, vcc
	s_branch .LBB2_375
.LBB2_374:                              ;   in Loop: Header=BB2_303 Depth=1
	s_branch .LBB2_379
.LBB2_375:                              ;   Parent Loop BB2_303 Depth=1
                                        ; =>  This Inner Loop Header: Depth=2
	v_mov_b32_e32 v6, 1
	s_and_saveexec_b64 s[16:17], s[4:5]
	s_cbranch_execz .LBB2_377
; %bb.376:                              ;   in Loop: Header=BB2_375 Depth=2
	global_load_dword v6, v[27:28], off offset:20 glc
	s_waitcnt vmcnt(0)
	buffer_wbinvl1_vol
	v_and_b32_e32 v6, 1, v6
.LBB2_377:                              ;   in Loop: Header=BB2_375 Depth=2
	s_or_b64 exec, exec, s[16:17]
	v_readfirstlane_b32 s16, v6
	s_cmp_eq_u32 s16, 0
	s_cbranch_scc1 .LBB2_374
; %bb.378:                              ;   in Loop: Header=BB2_375 Depth=2
	s_sleep 1
	s_cbranch_execnz .LBB2_375
.LBB2_379:                              ;   in Loop: Header=BB2_303 Depth=1
	global_load_dwordx4 v[6:9], v[2:3], off
	s_and_saveexec_b64 s[16:17], s[4:5]
	s_cbranch_execz .LBB2_302
; %bb.380:                              ;   in Loop: Header=BB2_303 Depth=1
	global_load_dwordx2 v[2:3], v26, s[6:7] offset:40
	global_load_dwordx2 v[12:13], v26, s[6:7] offset:24 glc
	global_load_dwordx2 v[8:9], v26, s[6:7]
	s_waitcnt vmcnt(2)
	v_readfirstlane_b32 s18, v2
	v_readfirstlane_b32 s19, v3
	s_add_u32 s20, s18, 1
	s_addc_u32 s21, s19, 0
	s_add_u32 s4, s20, s14
	s_addc_u32 s5, s21, s15
	s_cmp_eq_u64 s[4:5], 0
	s_cselect_b32 s5, s21, s5
	s_cselect_b32 s4, s20, s4
	s_and_b64 s[14:15], s[4:5], s[18:19]
	s_mul_i32 s15, s15, 24
	s_mul_hi_u32 s18, s14, 24
	s_mul_i32 s14, s14, 24
	s_add_i32 s15, s18, s15
	v_mov_b32_e32 v3, s15
	s_waitcnt vmcnt(0)
	v_add_co_u32_e32 v2, vcc, s14, v8
	v_addc_co_u32_e32 v3, vcc, v9, v3, vcc
	v_mov_b32_e32 v10, s4
	global_store_dwordx2 v[2:3], v[12:13], off
	v_mov_b32_e32 v11, s5
	s_waitcnt vmcnt(0)
	global_atomic_cmpswap_x2 v[10:11], v26, v[10:13], s[6:7] offset:24 glc
	s_waitcnt vmcnt(0)
	v_cmp_ne_u64_e32 vcc, v[10:11], v[12:13]
	s_and_b64 exec, exec, vcc
	s_cbranch_execz .LBB2_302
; %bb.381:                              ;   in Loop: Header=BB2_303 Depth=1
	s_mov_b64 s[14:15], 0
.LBB2_382:                              ;   Parent Loop BB2_303 Depth=1
                                        ; =>  This Inner Loop Header: Depth=2
	s_sleep 1
	global_store_dwordx2 v[2:3], v[10:11], off
	v_mov_b32_e32 v8, s4
	v_mov_b32_e32 v9, s5
	s_waitcnt vmcnt(0)
	global_atomic_cmpswap_x2 v[8:9], v26, v[8:11], s[6:7] offset:24 glc
	s_waitcnt vmcnt(0)
	v_cmp_eq_u64_e32 vcc, v[8:9], v[10:11]
	v_mov_b32_e32 v11, v9
	s_or_b64 s[14:15], vcc, s[14:15]
	v_mov_b32_e32 v10, v8
	s_andn2_b64 exec, exec, s[14:15]
	s_cbranch_execnz .LBB2_382
	s_branch .LBB2_302
.LBB2_383:                              ;   in Loop: Header=BB2_303 Depth=1
	s_branch .LBB2_356
.LBB2_384:                              ;   in Loop: Header=BB2_303 Depth=1
	v_mov_b32_e32 v20, 0
	v_mov_b32_e32 v21, 0
	s_cbranch_execnz .LBB2_357
	s_branch .LBB2_356
.LBB2_385:
	s_branch .LBB2_413
.LBB2_386:
	s_cbranch_execz .LBB2_413
; %bb.387:
	v_readfirstlane_b32 s4, v30
	s_waitcnt vmcnt(0)
	v_mov_b32_e32 v8, 0
	v_mov_b32_e32 v9, 0
	v_cmp_eq_u32_e64 s[4:5], s4, v30
	s_and_saveexec_b64 s[8:9], s[4:5]
	s_cbranch_execz .LBB2_393
; %bb.388:
	v_mov_b32_e32 v2, 0
	global_load_dwordx2 v[5:6], v2, s[6:7] offset:24 glc
	s_waitcnt vmcnt(0)
	buffer_wbinvl1_vol
	global_load_dwordx2 v[3:4], v2, s[6:7] offset:40
	global_load_dwordx2 v[7:8], v2, s[6:7]
	s_waitcnt vmcnt(1)
	v_and_b32_e32 v3, v3, v5
	v_and_b32_e32 v4, v4, v6
	v_mul_lo_u32 v4, v4, 24
	v_mul_hi_u32 v9, v3, 24
	v_mul_lo_u32 v3, v3, 24
	v_add_u32_e32 v4, v9, v4
	s_waitcnt vmcnt(0)
	v_add_co_u32_e32 v3, vcc, v7, v3
	v_addc_co_u32_e32 v4, vcc, v8, v4, vcc
	global_load_dwordx2 v[3:4], v[3:4], off glc
	s_waitcnt vmcnt(0)
	global_atomic_cmpswap_x2 v[8:9], v2, v[3:6], s[6:7] offset:24 glc
	s_waitcnt vmcnt(0)
	buffer_wbinvl1_vol
	v_cmp_ne_u64_e32 vcc, v[8:9], v[5:6]
	s_and_saveexec_b64 s[10:11], vcc
	s_cbranch_execz .LBB2_392
; %bb.389:
	s_mov_b64 s[12:13], 0
.LBB2_390:                              ; =>This Inner Loop Header: Depth=1
	s_sleep 1
	global_load_dwordx2 v[3:4], v2, s[6:7] offset:40
	global_load_dwordx2 v[10:11], v2, s[6:7]
	v_mov_b32_e32 v5, v8
	v_mov_b32_e32 v6, v9
	s_waitcnt vmcnt(1)
	v_and_b32_e32 v3, v3, v5
	s_waitcnt vmcnt(0)
	v_mad_u64_u32 v[7:8], s[14:15], v3, 24, v[10:11]
	v_and_b32_e32 v4, v4, v6
	v_mov_b32_e32 v3, v8
	v_mad_u64_u32 v[3:4], s[14:15], v4, 24, v[3:4]
	v_mov_b32_e32 v8, v3
	global_load_dwordx2 v[3:4], v[7:8], off glc
	s_waitcnt vmcnt(0)
	global_atomic_cmpswap_x2 v[8:9], v2, v[3:6], s[6:7] offset:24 glc
	s_waitcnt vmcnt(0)
	buffer_wbinvl1_vol
	v_cmp_eq_u64_e32 vcc, v[8:9], v[5:6]
	s_or_b64 s[12:13], vcc, s[12:13]
	s_andn2_b64 exec, exec, s[12:13]
	s_cbranch_execnz .LBB2_390
; %bb.391:
	s_or_b64 exec, exec, s[12:13]
.LBB2_392:
	s_or_b64 exec, exec, s[10:11]
.LBB2_393:
	s_or_b64 exec, exec, s[8:9]
	v_mov_b32_e32 v2, 0
	global_load_dwordx2 v[10:11], v2, s[6:7] offset:40
	global_load_dwordx4 v[4:7], v2, s[6:7]
	v_readfirstlane_b32 s9, v9
	v_readfirstlane_b32 s8, v8
	s_mov_b64 s[10:11], exec
	s_waitcnt vmcnt(1)
	v_readfirstlane_b32 s12, v10
	v_readfirstlane_b32 s13, v11
	s_and_b64 s[12:13], s[12:13], s[8:9]
	s_mul_i32 s14, s13, 24
	s_mul_hi_u32 s15, s12, 24
	s_mul_i32 s16, s12, 24
	s_add_i32 s14, s15, s14
	v_mov_b32_e32 v3, s14
	s_waitcnt vmcnt(0)
	v_add_co_u32_e32 v8, vcc, s16, v4
	v_addc_co_u32_e32 v9, vcc, v5, v3, vcc
	s_and_saveexec_b64 s[14:15], s[4:5]
	s_cbranch_execz .LBB2_395
; %bb.394:
	v_mov_b32_e32 v10, s10
	v_mov_b32_e32 v11, s11
	;; [unrolled: 1-line block ×4, first 2 shown]
	global_store_dwordx4 v[8:9], v[10:13], off offset:8
.LBB2_395:
	s_or_b64 exec, exec, s[14:15]
	s_lshl_b64 s[10:11], s[12:13], 12
	v_mov_b32_e32 v3, s11
	v_add_co_u32_e32 v6, vcc, s10, v6
	v_addc_co_u32_e32 v7, vcc, v7, v3, vcc
	s_movk_i32 s10, 0xff1d
	v_and_or_b32 v0, v0, s10, 34
	s_mov_b32 s12, 0
	v_mov_b32_e32 v3, v2
	v_readfirstlane_b32 s10, v6
	v_readfirstlane_b32 s11, v7
	s_mov_b32 s13, s12
	s_mov_b32 s14, s12
	;; [unrolled: 1-line block ×3, first 2 shown]
	s_nop 1
	global_store_dwordx4 v29, v[0:3], s[10:11]
	s_nop 0
	v_mov_b32_e32 v0, s12
	v_mov_b32_e32 v1, s13
	;; [unrolled: 1-line block ×4, first 2 shown]
	global_store_dwordx4 v29, v[0:3], s[10:11] offset:16
	global_store_dwordx4 v29, v[0:3], s[10:11] offset:32
	;; [unrolled: 1-line block ×3, first 2 shown]
	s_and_saveexec_b64 s[10:11], s[4:5]
	s_cbranch_execz .LBB2_403
; %bb.396:
	v_mov_b32_e32 v6, 0
	global_load_dwordx2 v[12:13], v6, s[6:7] offset:32 glc
	global_load_dwordx2 v[0:1], v6, s[6:7] offset:40
	v_mov_b32_e32 v10, s8
	v_mov_b32_e32 v11, s9
	s_waitcnt vmcnt(0)
	v_readfirstlane_b32 s12, v0
	v_readfirstlane_b32 s13, v1
	s_and_b64 s[12:13], s[12:13], s[8:9]
	s_mul_i32 s13, s13, 24
	s_mul_hi_u32 s14, s12, 24
	s_mul_i32 s12, s12, 24
	s_add_i32 s13, s14, s13
	v_mov_b32_e32 v0, s13
	v_add_co_u32_e32 v4, vcc, s12, v4
	v_addc_co_u32_e32 v5, vcc, v5, v0, vcc
	global_store_dwordx2 v[4:5], v[12:13], off
	s_waitcnt vmcnt(0)
	global_atomic_cmpswap_x2 v[2:3], v6, v[10:13], s[6:7] offset:32 glc
	s_waitcnt vmcnt(0)
	v_cmp_ne_u64_e32 vcc, v[2:3], v[12:13]
	s_and_saveexec_b64 s[12:13], vcc
	s_cbranch_execz .LBB2_399
; %bb.397:
	s_mov_b64 s[14:15], 0
.LBB2_398:                              ; =>This Inner Loop Header: Depth=1
	s_sleep 1
	global_store_dwordx2 v[4:5], v[2:3], off
	v_mov_b32_e32 v0, s8
	v_mov_b32_e32 v1, s9
	s_waitcnt vmcnt(0)
	global_atomic_cmpswap_x2 v[0:1], v6, v[0:3], s[6:7] offset:32 glc
	s_waitcnt vmcnt(0)
	v_cmp_eq_u64_e32 vcc, v[0:1], v[2:3]
	v_mov_b32_e32 v3, v1
	s_or_b64 s[14:15], vcc, s[14:15]
	v_mov_b32_e32 v2, v0
	s_andn2_b64 exec, exec, s[14:15]
	s_cbranch_execnz .LBB2_398
.LBB2_399:
	s_or_b64 exec, exec, s[12:13]
	v_mov_b32_e32 v3, 0
	global_load_dwordx2 v[0:1], v3, s[6:7] offset:16
	s_mov_b64 s[12:13], exec
	v_mbcnt_lo_u32_b32 v2, s12, 0
	v_mbcnt_hi_u32_b32 v2, s13, v2
	v_cmp_eq_u32_e32 vcc, 0, v2
	s_and_saveexec_b64 s[14:15], vcc
	s_cbranch_execz .LBB2_401
; %bb.400:
	s_bcnt1_i32_b64 s12, s[12:13]
	v_mov_b32_e32 v2, s12
	s_waitcnt vmcnt(0)
	global_atomic_add_x2 v[0:1], v[2:3], off offset:8
.LBB2_401:
	s_or_b64 exec, exec, s[14:15]
	s_waitcnt vmcnt(0)
	global_load_dwordx2 v[2:3], v[0:1], off offset:16
	s_waitcnt vmcnt(0)
	v_cmp_eq_u64_e32 vcc, 0, v[2:3]
	s_cbranch_vccnz .LBB2_403
; %bb.402:
	global_load_dword v0, v[0:1], off offset:24
	v_mov_b32_e32 v1, 0
	s_waitcnt vmcnt(0)
	v_readfirstlane_b32 s12, v0
	s_and_b32 m0, s12, 0xffffff
	global_store_dwordx2 v[2:3], v[0:1], off
	s_sendmsg sendmsg(MSG_INTERRUPT)
.LBB2_403:
	s_or_b64 exec, exec, s[10:11]
	s_branch .LBB2_405
.LBB2_404:
	s_branch .LBB2_409
.LBB2_405:                              ; =>This Inner Loop Header: Depth=1
	v_mov_b32_e32 v0, 1
	s_and_saveexec_b64 s[10:11], s[4:5]
	s_cbranch_execz .LBB2_407
; %bb.406:                              ;   in Loop: Header=BB2_405 Depth=1
	global_load_dword v0, v[8:9], off offset:20 glc
	s_waitcnt vmcnt(0)
	buffer_wbinvl1_vol
	v_and_b32_e32 v0, 1, v0
.LBB2_407:                              ;   in Loop: Header=BB2_405 Depth=1
	s_or_b64 exec, exec, s[10:11]
	v_readfirstlane_b32 s10, v0
	s_cmp_eq_u32 s10, 0
	s_cbranch_scc1 .LBB2_404
; %bb.408:                              ;   in Loop: Header=BB2_405 Depth=1
	s_sleep 1
	s_cbranch_execnz .LBB2_405
.LBB2_409:
	s_and_saveexec_b64 s[10:11], s[4:5]
	s_cbranch_execz .LBB2_412
; %bb.410:
	v_mov_b32_e32 v6, 0
	global_load_dwordx2 v[0:1], v6, s[6:7] offset:40
	global_load_dwordx2 v[9:10], v6, s[6:7] offset:24 glc
	global_load_dwordx2 v[2:3], v6, s[6:7]
	s_waitcnt vmcnt(2)
	v_readfirstlane_b32 s12, v0
	v_readfirstlane_b32 s13, v1
	s_add_u32 s14, s12, 1
	s_addc_u32 s15, s13, 0
	s_add_u32 s4, s14, s8
	s_addc_u32 s5, s15, s9
	s_cmp_eq_u64 s[4:5], 0
	s_cselect_b32 s5, s15, s5
	s_cselect_b32 s4, s14, s4
	s_and_b64 s[8:9], s[4:5], s[12:13]
	s_mul_i32 s9, s9, 24
	s_mul_hi_u32 s12, s8, 24
	s_mul_i32 s8, s8, 24
	s_add_i32 s9, s12, s9
	v_mov_b32_e32 v0, s9
	s_waitcnt vmcnt(0)
	v_add_co_u32_e32 v4, vcc, s8, v2
	v_addc_co_u32_e32 v5, vcc, v3, v0, vcc
	v_mov_b32_e32 v7, s4
	global_store_dwordx2 v[4:5], v[9:10], off
	v_mov_b32_e32 v8, s5
	s_waitcnt vmcnt(0)
	global_atomic_cmpswap_x2 v[2:3], v6, v[7:10], s[6:7] offset:24 glc
	s_mov_b64 s[8:9], 0
	s_waitcnt vmcnt(0)
	v_cmp_ne_u64_e32 vcc, v[2:3], v[9:10]
	s_and_b64 exec, exec, vcc
	s_cbranch_execz .LBB2_412
.LBB2_411:                              ; =>This Inner Loop Header: Depth=1
	s_sleep 1
	global_store_dwordx2 v[4:5], v[2:3], off
	v_mov_b32_e32 v0, s4
	v_mov_b32_e32 v1, s5
	s_waitcnt vmcnt(0)
	global_atomic_cmpswap_x2 v[0:1], v6, v[0:3], s[6:7] offset:24 glc
	s_waitcnt vmcnt(0)
	v_cmp_eq_u64_e32 vcc, v[0:1], v[2:3]
	v_mov_b32_e32 v3, v1
	s_or_b64 s[8:9], vcc, s[8:9]
	v_mov_b32_e32 v2, v0
	s_andn2_b64 exec, exec, s[8:9]
	s_cbranch_execnz .LBB2_411
.LBB2_412:
	s_or_b64 exec, exec, s[10:11]
.LBB2_413:
	s_getpc_b64 s[4:5]
	s_add_u32 s4, s4, .str.29@rel32@lo+4
	s_addc_u32 s5, s5, .str.29@rel32@hi+12
	s_getpc_b64 s[6:7]
	s_add_u32 s6, s6, .str.19@rel32@lo+4
	s_addc_u32 s7, s7, .str.19@rel32@hi+12
	s_getpc_b64 s[10:11]
	s_add_u32 s10, s10, __PRETTY_FUNCTION__._ZN7VecsMemIjLi8192EE5fetchEi@rel32@lo+4
	s_addc_u32 s11, s11, __PRETTY_FUNCTION__._ZN7VecsMemIjLi8192EE5fetchEi@rel32@hi+12
	s_getpc_b64 s[12:13]
	s_add_u32 s12, s12, __assert_fail@rel32@lo+4
	s_addc_u32 s13, s13, __assert_fail@rel32@hi+12
	s_mov_b64 s[8:9], s[34:35]
	s_waitcnt vmcnt(0)
	v_mov_b32_e32 v0, s4
	v_mov_b32_e32 v1, s5
	;; [unrolled: 1-line block ×7, first 2 shown]
	s_swappc_b64 s[30:31], s[12:13]
	s_or_b64 s[4:5], s[28:29], exec
.LBB2_414:
	s_or_b64 exec, exec, s[44:45]
	s_andn2_b64 s[6:7], s[26:27], exec
	s_and_b64 s[8:9], s[42:43], exec
	s_or_b64 s[26:27], s[6:7], s[8:9]
	s_andn2_b64 s[6:7], s[28:29], exec
	s_and_b64 s[4:5], s[4:5], exec
	v_mov_b32_e32 v54, -1
	s_or_b64 s[28:29], s[6:7], s[4:5]
	v_mov_b32_e32 v53, -1
.LBB2_415:
	s_or_b64 exec, exec, s[40:41]
	s_andn2_b64 s[8:9], s[36:37], exec
	s_and_b64 s[10:11], s[28:29], exec
	s_and_b64 s[4:5], s[26:27], exec
	s_xor_b64 s[6:7], exec, -1
	s_or_b64 s[8:9], s[8:9], s[10:11]
.LBB2_416:
	s_or_b64 exec, exec, s[48:49]
	s_and_b64 s[26:27], s[6:7], exec
	s_andn2_b64 s[6:7], s[36:37], exec
	s_and_b64 s[8:9], s[8:9], exec
	s_and_b64 s[4:5], s[4:5], exec
	s_or_b64 s[36:37], s[6:7], s[8:9]
	s_or_b64 exec, exec, s[38:39]
	s_and_saveexec_b64 s[6:7], s[36:37]
	s_xor_b64 s[6:7], exec, s[6:7]
	s_cbranch_execnz .LBB2_8
.LBB2_417:
	s_or_b64 exec, exec, s[6:7]
	s_and_saveexec_b64 s[6:7], s[26:27]
	s_cbranch_execz .LBB2_419
.LBB2_418:
	v_mov_b32_e32 v54, 0
	v_mov_b32_e32 v55, v54
	;; [unrolled: 1-line block ×4, first 2 shown]
	s_or_b64 s[4:5], s[4:5], exec
	v_mov_b32_e32 v53, v54
	flat_store_dwordx4 v[41:42], v[54:57]
.LBB2_419:
	s_or_b64 exec, exec, s[6:7]
	s_and_saveexec_b64 s[6:7], s[4:5]
; %bb.420:
	v_mov_b32_e32 v53, v54
; %bb.421:
	s_or_b64 exec, exec, s[6:7]
	buffer_load_dword v59, off, s[0:3], s33 ; 4-byte Folded Reload
	buffer_load_dword v58, off, s[0:3], s33 offset:4 ; 4-byte Folded Reload
	buffer_load_dword v57, off, s[0:3], s33 offset:8 ; 4-byte Folded Reload
	;; [unrolled: 1-line block ×11, first 2 shown]
	v_readlane_b32 s30, v60, 18
	v_mov_b32_e32 v0, v53
	v_readlane_b32 s31, v60, 19
	v_readlane_b32 s67, v60, 17
	;; [unrolled: 1-line block ×19, first 2 shown]
	s_mov_b32 s32, s33
	v_readlane_b32 s4, v60, 20
	s_or_saveexec_b64 s[6:7], -1
	buffer_load_dword v60, off, s[0:3], s33 offset:96 ; 4-byte Folded Reload
	s_mov_b64 exec, s[6:7]
	s_mov_b32 s33, s4
	s_waitcnt vmcnt(0) lgkmcnt(0)
	s_setpc_b64 s[30:31]
.Lfunc_end2:
	.size	_ZN3sop14minatoIsop5RecEjjiPNS_3SopEP7VecsMemIjLi8192EE, .Lfunc_end2-_ZN3sop14minatoIsop5RecEjjiPNS_3SopEP7VecsMemIjLi8192EE
                                        ; -- End function
	.set .L_ZN3sop14minatoIsop5RecEjjiPNS_3SopEP7VecsMemIjLi8192EE.num_vgpr, max(61, .L__assert_fail.num_vgpr)
	.set .L_ZN3sop14minatoIsop5RecEjjiPNS_3SopEP7VecsMemIjLi8192EE.num_agpr, max(0, .L__assert_fail.num_agpr)
	.set .L_ZN3sop14minatoIsop5RecEjjiPNS_3SopEP7VecsMemIjLi8192EE.numbered_sgpr, max(68, .L__assert_fail.numbered_sgpr)
	.set .L_ZN3sop14minatoIsop5RecEjjiPNS_3SopEP7VecsMemIjLi8192EE.num_named_barrier, max(0, .L__assert_fail.num_named_barrier)
	.set .L_ZN3sop14minatoIsop5RecEjjiPNS_3SopEP7VecsMemIjLi8192EE.private_seg_size, 112+max(.L__assert_fail.private_seg_size)
	.set .L_ZN3sop14minatoIsop5RecEjjiPNS_3SopEP7VecsMemIjLi8192EE.uses_vcc, or(1, .L__assert_fail.uses_vcc)
	.set .L_ZN3sop14minatoIsop5RecEjjiPNS_3SopEP7VecsMemIjLi8192EE.uses_flat_scratch, or(0, .L__assert_fail.uses_flat_scratch)
	.set .L_ZN3sop14minatoIsop5RecEjjiPNS_3SopEP7VecsMemIjLi8192EE.has_dyn_sized_stack, or(0, .L__assert_fail.has_dyn_sized_stack)
	.set .L_ZN3sop14minatoIsop5RecEjjiPNS_3SopEP7VecsMemIjLi8192EE.has_recursion, or(1, .L__assert_fail.has_recursion)
	.set .L_ZN3sop14minatoIsop5RecEjjiPNS_3SopEP7VecsMemIjLi8192EE.has_indirect_call, or(0, .L__assert_fail.has_indirect_call)
	.section	.AMDGPU.csdata,"",@progbits
; Function info:
; codeLenInByte = 13728
; TotalNumSgprs: 72
; NumVgprs: 61
; ScratchSize: 176
; MemoryBound: 0
	.text
	.p2align	2                               ; -- Begin function _ZN3sop13minatoIsopRecEPKjS1_iPNS_3SopEP7VecsMemIjLi8192EE
	.type	_ZN3sop13minatoIsopRecEPKjS1_iPNS_3SopEP7VecsMemIjLi8192EE,@function
_ZN3sop13minatoIsopRecEPKjS1_iPNS_3SopEP7VecsMemIjLi8192EE: ; @_ZN3sop13minatoIsopRecEPKjS1_iPNS_3SopEP7VecsMemIjLi8192EE
; %bb.0:
	s_waitcnt vmcnt(0) expcnt(0) lgkmcnt(0)
	s_mov_b32 s4, s33
	s_mov_b32 s33, s32
	s_or_saveexec_b64 s[6:7], -1
	buffer_store_dword v63, off, s[0:3], s33 offset:136 ; 4-byte Folded Spill
	buffer_store_dword v62, off, s[0:3], s33 offset:140 ; 4-byte Folded Spill
	s_mov_b64 exec, s[6:7]
	v_writelane_b32 v63, s4, 36
	s_addk_i32 s32, 0x2800
	buffer_store_dword v40, off, s[0:3], s33 offset:52 ; 4-byte Folded Spill
	buffer_store_dword v41, off, s[0:3], s33 offset:48 ; 4-byte Folded Spill
	buffer_store_dword v42, off, s[0:3], s33 offset:44 ; 4-byte Folded Spill
	buffer_store_dword v43, off, s[0:3], s33 offset:40 ; 4-byte Folded Spill
	buffer_store_dword v44, off, s[0:3], s33 offset:36 ; 4-byte Folded Spill
	buffer_store_dword v45, off, s[0:3], s33 offset:32 ; 4-byte Folded Spill
	buffer_store_dword v46, off, s[0:3], s33 offset:28 ; 4-byte Folded Spill
	buffer_store_dword v47, off, s[0:3], s33 offset:24 ; 4-byte Folded Spill
	buffer_store_dword v56, off, s[0:3], s33 offset:20 ; 4-byte Folded Spill
	buffer_store_dword v57, off, s[0:3], s33 offset:16 ; 4-byte Folded Spill
	buffer_store_dword v58, off, s[0:3], s33 offset:12 ; 4-byte Folded Spill
	buffer_store_dword v59, off, s[0:3], s33 offset:8 ; 4-byte Folded Spill
	buffer_store_dword v60, off, s[0:3], s33 offset:4 ; 4-byte Folded Spill
	buffer_store_dword v61, off, s[0:3], s33 ; 4-byte Folded Spill
	v_writelane_b32 v63, s34, 0
	v_writelane_b32 v63, s35, 1
	;; [unrolled: 1-line block ×36, first 2 shown]
	v_mov_b32_e32 v58, v0
	v_add_u32_e32 v0, -5, v4
	v_lshlrev_b32_e64 v0, v0, 1
	v_cmp_lt_i32_e32 vcc, 5, v4
	v_cndmask_b32_e32 v46, 1, v0, vcc
	v_mov_b32_e32 v41, 0
	v_mov_b32_e32 v44, v8
	;; [unrolled: 1-line block ×8, first 2 shown]
	v_cmp_lt_i32_e32 vcc, 0, v46
	s_mov_b64 s[4:5], -1
	v_mov_b32_e32 v42, 0
	s_mov_b64 s[68:69], 0
	s_and_saveexec_b64 s[28:29], vcc
	s_cbranch_execnz .LBB3_5
; %bb.1:
	s_or_b64 exec, exec, s[28:29]
	s_and_saveexec_b64 s[70:71], s[4:5]
	s_cbranch_execnz .LBB3_148
.LBB3_2:
	s_or_b64 exec, exec, s[70:71]
	s_and_saveexec_b64 s[4:5], s[68:69]
.LBB3_3:
	; divergent unreachable
.LBB3_4:
	s_or_b64 exec, exec, s[4:5]
	v_mov_b32_e32 v0, v41
	v_mov_b32_e32 v1, v42
	buffer_load_dword v61, off, s[0:3], s33 ; 4-byte Folded Reload
	buffer_load_dword v60, off, s[0:3], s33 offset:4 ; 4-byte Folded Reload
	buffer_load_dword v59, off, s[0:3], s33 offset:8 ; 4-byte Folded Reload
	;; [unrolled: 1-line block ×13, first 2 shown]
	v_readlane_b32 s30, v63, 34
	v_readlane_b32 s31, v63, 35
	;; [unrolled: 1-line block ×36, first 2 shown]
	s_mov_b32 s32, s33
	v_readlane_b32 s4, v63, 36
	s_or_saveexec_b64 s[6:7], -1
	buffer_load_dword v63, off, s[0:3], s33 offset:136 ; 4-byte Folded Reload
	buffer_load_dword v62, off, s[0:3], s33 offset:140 ; 4-byte Folded Reload
	s_mov_b64 exec, s[6:7]
	s_mov_b32 s33, s4
	s_waitcnt vmcnt(0) lgkmcnt(0)
	s_setpc_b64 s[30:31]
.LBB3_5:
	flat_load_dword v0, v[43:44]
	s_movk_i32 s6, 0x2001
	v_mov_b32_e32 v41, 0
	s_mov_b64 s[4:5], 0
	v_mov_b32_e32 v42, 0
	s_mov_b64 s[40:41], 0
	s_waitcnt vmcnt(0) lgkmcnt(0)
	v_add_u32_e32 v0, v0, v46
	v_cmp_gt_i32_e32 vcc, s6, v0
	s_and_saveexec_b64 s[6:7], vcc
	s_xor_b64 s[6:7], exec, s[6:7]
	s_cbranch_execz .LBB3_7
; %bb.6:
	v_ashrrev_i32_e32 v1, 31, v0
	flat_store_dword v[43:44], v0
	v_lshlrev_b64 v[0:1], 2, v[0:1]
	v_mov_b32_e32 v47, 0
	v_add_co_u32_e32 v2, vcc, v43, v0
	v_addc_co_u32_e32 v3, vcc, v44, v1, vcc
	v_lshlrev_b64 v[0:1], 2, v[46:47]
	s_mov_b64 s[40:41], exec
	v_sub_co_u32_e32 v0, vcc, v2, v0
	v_subb_co_u32_e32 v1, vcc, v3, v1, vcc
	v_add_co_u32_e32 v41, vcc, 4, v0
	v_addc_co_u32_e32 v42, vcc, 0, v1, vcc
.LBB3_7:
	s_andn2_saveexec_b64 s[42:43], s[6:7]
	s_cbranch_execz .LBB3_147
; %bb.8:
	s_load_dwordx2 s[6:7], s[8:9], 0x50
	v_mbcnt_lo_u32_b32 v0, -1, 0
	v_mbcnt_hi_u32_b32 v32, -1, v0
	v_readfirstlane_b32 s4, v32
	v_mov_b32_e32 v7, 0
	v_mov_b32_e32 v8, 0
	v_cmp_eq_u32_e64 s[4:5], s4, v32
	s_and_saveexec_b64 s[10:11], s[4:5]
	s_cbranch_execz .LBB3_14
; %bb.9:
	v_mov_b32_e32 v0, 0
	s_waitcnt lgkmcnt(0)
	global_load_dwordx2 v[9:10], v0, s[6:7] offset:24 glc
	s_waitcnt vmcnt(0)
	buffer_wbinvl1_vol
	global_load_dwordx2 v[1:2], v0, s[6:7] offset:40
	global_load_dwordx2 v[5:6], v0, s[6:7]
	s_waitcnt vmcnt(1)
	v_and_b32_e32 v1, v1, v9
	v_and_b32_e32 v2, v2, v10
	v_mul_lo_u32 v2, v2, 24
	v_mul_hi_u32 v3, v1, 24
	v_mul_lo_u32 v1, v1, 24
	v_add_u32_e32 v2, v3, v2
	s_waitcnt vmcnt(0)
	v_add_co_u32_e32 v1, vcc, v5, v1
	v_addc_co_u32_e32 v2, vcc, v6, v2, vcc
	global_load_dwordx2 v[7:8], v[1:2], off glc
	s_waitcnt vmcnt(0)
	global_atomic_cmpswap_x2 v[7:8], v0, v[7:10], s[6:7] offset:24 glc
	s_waitcnt vmcnt(0)
	buffer_wbinvl1_vol
	v_cmp_ne_u64_e32 vcc, v[7:8], v[9:10]
	s_and_saveexec_b64 s[12:13], vcc
	s_cbranch_execz .LBB3_13
; %bb.10:
	s_mov_b64 s[14:15], 0
.LBB3_11:                               ; =>This Inner Loop Header: Depth=1
	s_sleep 1
	global_load_dwordx2 v[1:2], v0, s[6:7] offset:40
	global_load_dwordx2 v[5:6], v0, s[6:7]
	v_mov_b32_e32 v10, v8
	v_mov_b32_e32 v9, v7
	s_waitcnt vmcnt(1)
	v_and_b32_e32 v1, v1, v9
	s_waitcnt vmcnt(0)
	v_mad_u64_u32 v[5:6], s[16:17], v1, 24, v[5:6]
	v_and_b32_e32 v2, v2, v10
	v_mov_b32_e32 v1, v6
	v_mad_u64_u32 v[1:2], s[16:17], v2, 24, v[1:2]
	v_mov_b32_e32 v6, v1
	global_load_dwordx2 v[7:8], v[5:6], off glc
	s_waitcnt vmcnt(0)
	global_atomic_cmpswap_x2 v[7:8], v0, v[7:10], s[6:7] offset:24 glc
	s_waitcnt vmcnt(0)
	buffer_wbinvl1_vol
	v_cmp_eq_u64_e32 vcc, v[7:8], v[9:10]
	s_or_b64 s[14:15], vcc, s[14:15]
	s_andn2_b64 exec, exec, s[14:15]
	s_cbranch_execnz .LBB3_11
; %bb.12:
	s_or_b64 exec, exec, s[14:15]
.LBB3_13:
	s_or_b64 exec, exec, s[12:13]
.LBB3_14:
	s_or_b64 exec, exec, s[10:11]
	v_mov_b32_e32 v6, 0
	s_waitcnt lgkmcnt(0)
	global_load_dwordx2 v[9:10], v6, s[6:7] offset:40
	global_load_dwordx4 v[0:3], v6, s[6:7]
	v_readfirstlane_b32 s11, v8
	v_readfirstlane_b32 s10, v7
	s_mov_b64 s[12:13], exec
	s_waitcnt vmcnt(0)
	v_readfirstlane_b32 s14, v9
	v_readfirstlane_b32 s15, v10
	s_and_b64 s[14:15], s[14:15], s[10:11]
	s_mul_i32 s16, s15, 24
	s_mul_hi_u32 s17, s14, 24
	s_mul_i32 s18, s14, 24
	s_add_i32 s16, s17, s16
	v_mov_b32_e32 v5, s16
	v_add_co_u32_e32 v9, vcc, s18, v0
	v_addc_co_u32_e32 v10, vcc, v1, v5, vcc
	s_and_saveexec_b64 s[16:17], s[4:5]
	s_cbranch_execz .LBB3_16
; %bb.15:
	v_mov_b32_e32 v11, s12
	v_mov_b32_e32 v12, s13
	;; [unrolled: 1-line block ×4, first 2 shown]
	global_store_dwordx4 v[9:10], v[11:14], off offset:8
.LBB3_16:
	s_or_b64 exec, exec, s[16:17]
	s_lshl_b64 s[12:13], s[14:15], 12
	v_mov_b32_e32 v5, s13
	v_add_co_u32_e32 v2, vcc, s12, v2
	v_addc_co_u32_e32 v3, vcc, v3, v5, vcc
	v_lshlrev_b32_e32 v31, 6, v32
	s_mov_b32 s12, 0
	v_mov_b32_e32 v5, 33
	v_mov_b32_e32 v7, v6
	;; [unrolled: 1-line block ×3, first 2 shown]
	v_readfirstlane_b32 s16, v2
	v_readfirstlane_b32 s17, v3
	v_add_co_u32_e32 v11, vcc, v2, v31
	s_mov_b32 s13, s12
	s_mov_b32 s14, s12
	;; [unrolled: 1-line block ×3, first 2 shown]
	s_nop 0
	global_store_dwordx4 v31, v[5:8], s[16:17]
	v_addc_co_u32_e32 v12, vcc, 0, v3, vcc
	v_mov_b32_e32 v5, s12
	v_mov_b32_e32 v6, s13
	;; [unrolled: 1-line block ×4, first 2 shown]
	global_store_dwordx4 v31, v[5:8], s[16:17] offset:16
	global_store_dwordx4 v31, v[5:8], s[16:17] offset:32
	global_store_dwordx4 v31, v[5:8], s[16:17] offset:48
	s_and_saveexec_b64 s[12:13], s[4:5]
	s_cbranch_execz .LBB3_24
; %bb.17:
	v_mov_b32_e32 v7, 0
	global_load_dwordx2 v[15:16], v7, s[6:7] offset:32 glc
	global_load_dwordx2 v[2:3], v7, s[6:7] offset:40
	v_mov_b32_e32 v13, s10
	v_mov_b32_e32 v14, s11
	s_waitcnt vmcnt(0)
	v_and_b32_e32 v2, s10, v2
	v_and_b32_e32 v3, s11, v3
	v_mul_lo_u32 v3, v3, 24
	v_mul_hi_u32 v5, v2, 24
	v_mul_lo_u32 v2, v2, 24
	v_add_u32_e32 v3, v5, v3
	v_add_co_u32_e32 v5, vcc, v0, v2
	v_addc_co_u32_e32 v6, vcc, v1, v3, vcc
	global_store_dwordx2 v[5:6], v[15:16], off
	s_waitcnt vmcnt(0)
	global_atomic_cmpswap_x2 v[2:3], v7, v[13:16], s[6:7] offset:32 glc
	s_waitcnt vmcnt(0)
	v_cmp_ne_u64_e32 vcc, v[2:3], v[15:16]
	s_and_saveexec_b64 s[14:15], vcc
	s_cbranch_execz .LBB3_20
; %bb.18:
	s_mov_b64 s[16:17], 0
.LBB3_19:                               ; =>This Inner Loop Header: Depth=1
	s_sleep 1
	global_store_dwordx2 v[5:6], v[2:3], off
	v_mov_b32_e32 v0, s10
	v_mov_b32_e32 v1, s11
	s_waitcnt vmcnt(0)
	global_atomic_cmpswap_x2 v[0:1], v7, v[0:3], s[6:7] offset:32 glc
	s_waitcnt vmcnt(0)
	v_cmp_eq_u64_e32 vcc, v[0:1], v[2:3]
	v_mov_b32_e32 v3, v1
	s_or_b64 s[16:17], vcc, s[16:17]
	v_mov_b32_e32 v2, v0
	s_andn2_b64 exec, exec, s[16:17]
	s_cbranch_execnz .LBB3_19
.LBB3_20:
	s_or_b64 exec, exec, s[14:15]
	v_mov_b32_e32 v3, 0
	global_load_dwordx2 v[0:1], v3, s[6:7] offset:16
	s_mov_b64 s[14:15], exec
	v_mbcnt_lo_u32_b32 v2, s14, 0
	v_mbcnt_hi_u32_b32 v2, s15, v2
	v_cmp_eq_u32_e32 vcc, 0, v2
	s_and_saveexec_b64 s[16:17], vcc
	s_cbranch_execz .LBB3_22
; %bb.21:
	s_bcnt1_i32_b64 s14, s[14:15]
	v_mov_b32_e32 v2, s14
	s_waitcnt vmcnt(0)
	global_atomic_add_x2 v[0:1], v[2:3], off offset:8
.LBB3_22:
	s_or_b64 exec, exec, s[16:17]
	s_waitcnt vmcnt(0)
	global_load_dwordx2 v[2:3], v[0:1], off offset:16
	s_waitcnt vmcnt(0)
	v_cmp_eq_u64_e32 vcc, 0, v[2:3]
	s_cbranch_vccnz .LBB3_24
; %bb.23:
	global_load_dword v0, v[0:1], off offset:24
	v_mov_b32_e32 v1, 0
	s_waitcnt vmcnt(0)
	v_readfirstlane_b32 s14, v0
	s_and_b32 m0, s14, 0xffffff
	global_store_dwordx2 v[2:3], v[0:1], off
	s_sendmsg sendmsg(MSG_INTERRUPT)
.LBB3_24:
	s_or_b64 exec, exec, s[12:13]
	s_branch .LBB3_28
.LBB3_25:                               ;   in Loop: Header=BB3_28 Depth=1
	s_or_b64 exec, exec, s[12:13]
	v_readfirstlane_b32 s12, v0
	s_cmp_eq_u32 s12, 0
	s_cbranch_scc1 .LBB3_27
; %bb.26:                               ;   in Loop: Header=BB3_28 Depth=1
	s_sleep 1
	s_cbranch_execnz .LBB3_28
	s_branch .LBB3_30
.LBB3_27:
	s_branch .LBB3_30
.LBB3_28:                               ; =>This Inner Loop Header: Depth=1
	v_mov_b32_e32 v0, 1
	s_and_saveexec_b64 s[12:13], s[4:5]
	s_cbranch_execz .LBB3_25
; %bb.29:                               ;   in Loop: Header=BB3_28 Depth=1
	global_load_dword v0, v[9:10], off offset:20 glc
	s_waitcnt vmcnt(0)
	buffer_wbinvl1_vol
	v_and_b32_e32 v0, 1, v0
	s_branch .LBB3_25
.LBB3_30:
	global_load_dwordx2 v[0:1], v[11:12], off
	s_and_saveexec_b64 s[12:13], s[4:5]
	s_cbranch_execz .LBB3_33
; %bb.31:
	v_mov_b32_e32 v9, 0
	global_load_dwordx2 v[2:3], v9, s[6:7] offset:40
	global_load_dwordx2 v[12:13], v9, s[6:7] offset:24 glc
	global_load_dwordx2 v[5:6], v9, s[6:7]
	s_waitcnt vmcnt(2)
	v_readfirstlane_b32 s14, v2
	v_readfirstlane_b32 s15, v3
	s_add_u32 s16, s14, 1
	s_addc_u32 s17, s15, 0
	s_add_u32 s4, s16, s10
	s_addc_u32 s5, s17, s11
	s_cmp_eq_u64 s[4:5], 0
	s_cselect_b32 s5, s17, s5
	s_cselect_b32 s4, s16, s4
	s_and_b64 s[10:11], s[4:5], s[14:15]
	s_mul_i32 s11, s11, 24
	s_mul_hi_u32 s14, s10, 24
	s_mul_i32 s10, s10, 24
	s_add_i32 s11, s14, s11
	v_mov_b32_e32 v3, s11
	s_waitcnt vmcnt(0)
	v_add_co_u32_e32 v2, vcc, s10, v5
	v_addc_co_u32_e32 v3, vcc, v6, v3, vcc
	v_mov_b32_e32 v10, s4
	global_store_dwordx2 v[2:3], v[12:13], off
	v_mov_b32_e32 v11, s5
	s_waitcnt vmcnt(0)
	global_atomic_cmpswap_x2 v[7:8], v9, v[10:13], s[6:7] offset:24 glc
	s_mov_b64 s[10:11], 0
	s_waitcnt vmcnt(0)
	v_cmp_ne_u64_e32 vcc, v[7:8], v[12:13]
	s_and_b64 exec, exec, vcc
	s_cbranch_execz .LBB3_33
.LBB3_32:                               ; =>This Inner Loop Header: Depth=1
	s_sleep 1
	global_store_dwordx2 v[2:3], v[7:8], off
	v_mov_b32_e32 v5, s4
	v_mov_b32_e32 v6, s5
	s_waitcnt vmcnt(0)
	global_atomic_cmpswap_x2 v[5:6], v9, v[5:8], s[6:7] offset:24 glc
	s_waitcnt vmcnt(0)
	v_cmp_eq_u64_e32 vcc, v[5:6], v[7:8]
	v_mov_b32_e32 v8, v6
	s_or_b64 s[10:11], vcc, s[10:11]
	v_mov_b32_e32 v7, v5
	s_andn2_b64 exec, exec, s[10:11]
	s_cbranch_execnz .LBB3_32
.LBB3_33:
	s_or_b64 exec, exec, s[12:13]
	s_getpc_b64 s[10:11]
	s_add_u32 s10, s10, .str.28@rel32@lo+4
	s_addc_u32 s11, s11, .str.28@rel32@hi+12
	s_cmp_lg_u64 s[10:11], 0
	s_cbranch_scc0 .LBB3_119
; %bb.34:
	s_waitcnt vmcnt(0)
	v_and_b32_e32 v9, -3, v0
	v_mov_b32_e32 v10, v1
	s_mov_b64 s[12:13], 35
	v_mov_b32_e32 v3, 0
	v_mov_b32_e32 v7, 2
	;; [unrolled: 1-line block ×3, first 2 shown]
	s_branch .LBB3_36
.LBB3_35:                               ;   in Loop: Header=BB3_36 Depth=1
	s_or_b64 exec, exec, s[18:19]
	s_sub_u32 s12, s12, s14
	s_subb_u32 s13, s13, s15
	s_add_u32 s10, s10, s14
	s_addc_u32 s11, s11, s15
	s_cmp_lg_u64 s[12:13], 0
	s_cbranch_scc0 .LBB3_118
.LBB3_36:                               ; =>This Loop Header: Depth=1
                                        ;     Child Loop BB3_39 Depth 2
                                        ;     Child Loop BB3_47 Depth 2
                                        ;     Child Loop BB3_55 Depth 2
                                        ;     Child Loop BB3_63 Depth 2
                                        ;     Child Loop BB3_71 Depth 2
                                        ;     Child Loop BB3_79 Depth 2
                                        ;     Child Loop BB3_87 Depth 2
                                        ;     Child Loop BB3_95 Depth 2
                                        ;     Child Loop BB3_103 Depth 2
                                        ;     Child Loop BB3_112 Depth 2
                                        ;     Child Loop BB3_117 Depth 2
	v_cmp_lt_u64_e64 s[4:5], s[12:13], 56
	v_cmp_gt_u64_e64 s[16:17], s[12:13], 7
	s_and_b64 s[4:5], s[4:5], exec
	s_cselect_b32 s15, s13, 0
	s_cselect_b32 s14, s12, 56
	s_add_u32 s4, s10, 8
	s_addc_u32 s5, s11, 0
	s_and_b64 vcc, exec, s[16:17]
	s_cbranch_vccnz .LBB3_40
; %bb.37:                               ;   in Loop: Header=BB3_36 Depth=1
	s_cmp_eq_u64 s[12:13], 0
	s_cbranch_scc1 .LBB3_41
; %bb.38:                               ;   in Loop: Header=BB3_36 Depth=1
	s_waitcnt vmcnt(0)
	v_mov_b32_e32 v11, 0
	s_lshl_b64 s[4:5], s[14:15], 3
	s_mov_b64 s[16:17], 0
	v_mov_b32_e32 v12, 0
	s_mov_b64 s[18:19], s[10:11]
.LBB3_39:                               ;   Parent Loop BB3_36 Depth=1
                                        ; =>  This Inner Loop Header: Depth=2
	global_load_ubyte v2, v3, s[18:19]
	s_waitcnt vmcnt(0)
	v_and_b32_e32 v2, 0xffff, v2
	v_lshlrev_b64 v[5:6], s16, v[2:3]
	s_add_u32 s16, s16, 8
	s_addc_u32 s17, s17, 0
	s_add_u32 s18, s18, 1
	s_addc_u32 s19, s19, 0
	v_or_b32_e32 v11, v5, v11
	s_cmp_lg_u32 s4, s16
	v_or_b32_e32 v12, v6, v12
	s_cbranch_scc1 .LBB3_39
	s_branch .LBB3_42
.LBB3_40:                               ;   in Loop: Header=BB3_36 Depth=1
	s_mov_b32 s20, 0
	s_branch .LBB3_43
.LBB3_41:                               ;   in Loop: Header=BB3_36 Depth=1
	s_waitcnt vmcnt(0)
	v_mov_b32_e32 v11, 0
	v_mov_b32_e32 v12, 0
.LBB3_42:                               ;   in Loop: Header=BB3_36 Depth=1
	s_mov_b64 s[4:5], s[10:11]
	s_mov_b32 s20, 0
	s_cbranch_execnz .LBB3_44
.LBB3_43:                               ;   in Loop: Header=BB3_36 Depth=1
	global_load_dwordx2 v[11:12], v3, s[10:11]
	s_add_i32 s20, s14, -8
.LBB3_44:                               ;   in Loop: Header=BB3_36 Depth=1
	s_add_u32 s16, s4, 8
	s_addc_u32 s17, s5, 0
	s_cmp_gt_u32 s20, 7
	s_cbranch_scc1 .LBB3_48
; %bb.45:                               ;   in Loop: Header=BB3_36 Depth=1
	s_cmp_eq_u32 s20, 0
	s_cbranch_scc1 .LBB3_49
; %bb.46:                               ;   in Loop: Header=BB3_36 Depth=1
	v_mov_b32_e32 v13, 0
	s_mov_b64 s[16:17], 0
	v_mov_b32_e32 v14, 0
	s_mov_b64 s[18:19], 0
.LBB3_47:                               ;   Parent Loop BB3_36 Depth=1
                                        ; =>  This Inner Loop Header: Depth=2
	s_add_u32 s22, s4, s18
	s_addc_u32 s23, s5, s19
	global_load_ubyte v2, v3, s[22:23]
	s_add_u32 s18, s18, 1
	s_addc_u32 s19, s19, 0
	s_waitcnt vmcnt(0)
	v_and_b32_e32 v2, 0xffff, v2
	v_lshlrev_b64 v[5:6], s16, v[2:3]
	s_add_u32 s16, s16, 8
	s_addc_u32 s17, s17, 0
	v_or_b32_e32 v13, v5, v13
	s_cmp_lg_u32 s20, s18
	v_or_b32_e32 v14, v6, v14
	s_cbranch_scc1 .LBB3_47
	s_branch .LBB3_50
.LBB3_48:                               ;   in Loop: Header=BB3_36 Depth=1
                                        ; implicit-def: $vgpr13_vgpr14
	s_mov_b32 s21, 0
	s_branch .LBB3_51
.LBB3_49:                               ;   in Loop: Header=BB3_36 Depth=1
	v_mov_b32_e32 v13, 0
	v_mov_b32_e32 v14, 0
.LBB3_50:                               ;   in Loop: Header=BB3_36 Depth=1
	s_mov_b64 s[16:17], s[4:5]
	s_mov_b32 s21, 0
	s_cbranch_execnz .LBB3_52
.LBB3_51:                               ;   in Loop: Header=BB3_36 Depth=1
	global_load_dwordx2 v[13:14], v3, s[4:5]
	s_add_i32 s21, s20, -8
.LBB3_52:                               ;   in Loop: Header=BB3_36 Depth=1
	s_add_u32 s4, s16, 8
	s_addc_u32 s5, s17, 0
	s_cmp_gt_u32 s21, 7
	s_cbranch_scc1 .LBB3_56
; %bb.53:                               ;   in Loop: Header=BB3_36 Depth=1
	s_cmp_eq_u32 s21, 0
	s_cbranch_scc1 .LBB3_57
; %bb.54:                               ;   in Loop: Header=BB3_36 Depth=1
	v_mov_b32_e32 v15, 0
	s_mov_b64 s[4:5], 0
	v_mov_b32_e32 v16, 0
	s_mov_b64 s[18:19], 0
.LBB3_55:                               ;   Parent Loop BB3_36 Depth=1
                                        ; =>  This Inner Loop Header: Depth=2
	s_add_u32 s22, s16, s18
	s_addc_u32 s23, s17, s19
	global_load_ubyte v2, v3, s[22:23]
	s_add_u32 s18, s18, 1
	s_addc_u32 s19, s19, 0
	s_waitcnt vmcnt(0)
	v_and_b32_e32 v2, 0xffff, v2
	v_lshlrev_b64 v[5:6], s4, v[2:3]
	s_add_u32 s4, s4, 8
	s_addc_u32 s5, s5, 0
	v_or_b32_e32 v15, v5, v15
	s_cmp_lg_u32 s21, s18
	v_or_b32_e32 v16, v6, v16
	s_cbranch_scc1 .LBB3_55
	s_branch .LBB3_58
.LBB3_56:                               ;   in Loop: Header=BB3_36 Depth=1
	s_mov_b32 s20, 0
	s_branch .LBB3_59
.LBB3_57:                               ;   in Loop: Header=BB3_36 Depth=1
	v_mov_b32_e32 v15, 0
	v_mov_b32_e32 v16, 0
.LBB3_58:                               ;   in Loop: Header=BB3_36 Depth=1
	s_mov_b64 s[4:5], s[16:17]
	s_mov_b32 s20, 0
	s_cbranch_execnz .LBB3_60
.LBB3_59:                               ;   in Loop: Header=BB3_36 Depth=1
	global_load_dwordx2 v[15:16], v3, s[16:17]
	s_add_i32 s20, s21, -8
.LBB3_60:                               ;   in Loop: Header=BB3_36 Depth=1
	s_add_u32 s16, s4, 8
	s_addc_u32 s17, s5, 0
	s_cmp_gt_u32 s20, 7
	s_cbranch_scc1 .LBB3_64
; %bb.61:                               ;   in Loop: Header=BB3_36 Depth=1
	s_cmp_eq_u32 s20, 0
	s_cbranch_scc1 .LBB3_65
; %bb.62:                               ;   in Loop: Header=BB3_36 Depth=1
	v_mov_b32_e32 v17, 0
	s_mov_b64 s[16:17], 0
	v_mov_b32_e32 v18, 0
	s_mov_b64 s[18:19], 0
.LBB3_63:                               ;   Parent Loop BB3_36 Depth=1
                                        ; =>  This Inner Loop Header: Depth=2
	s_add_u32 s22, s4, s18
	s_addc_u32 s23, s5, s19
	global_load_ubyte v2, v3, s[22:23]
	s_add_u32 s18, s18, 1
	s_addc_u32 s19, s19, 0
	s_waitcnt vmcnt(0)
	v_and_b32_e32 v2, 0xffff, v2
	v_lshlrev_b64 v[5:6], s16, v[2:3]
	s_add_u32 s16, s16, 8
	s_addc_u32 s17, s17, 0
	v_or_b32_e32 v17, v5, v17
	s_cmp_lg_u32 s20, s18
	v_or_b32_e32 v18, v6, v18
	s_cbranch_scc1 .LBB3_63
	s_branch .LBB3_66
.LBB3_64:                               ;   in Loop: Header=BB3_36 Depth=1
                                        ; implicit-def: $vgpr17_vgpr18
	s_mov_b32 s21, 0
	s_branch .LBB3_67
.LBB3_65:                               ;   in Loop: Header=BB3_36 Depth=1
	v_mov_b32_e32 v17, 0
	v_mov_b32_e32 v18, 0
.LBB3_66:                               ;   in Loop: Header=BB3_36 Depth=1
	s_mov_b64 s[16:17], s[4:5]
	s_mov_b32 s21, 0
	s_cbranch_execnz .LBB3_68
.LBB3_67:                               ;   in Loop: Header=BB3_36 Depth=1
	global_load_dwordx2 v[17:18], v3, s[4:5]
	s_add_i32 s21, s20, -8
.LBB3_68:                               ;   in Loop: Header=BB3_36 Depth=1
	s_add_u32 s4, s16, 8
	s_addc_u32 s5, s17, 0
	s_cmp_gt_u32 s21, 7
	s_cbranch_scc1 .LBB3_72
; %bb.69:                               ;   in Loop: Header=BB3_36 Depth=1
	s_cmp_eq_u32 s21, 0
	s_cbranch_scc1 .LBB3_73
; %bb.70:                               ;   in Loop: Header=BB3_36 Depth=1
	v_mov_b32_e32 v19, 0
	s_mov_b64 s[4:5], 0
	v_mov_b32_e32 v20, 0
	s_mov_b64 s[18:19], 0
.LBB3_71:                               ;   Parent Loop BB3_36 Depth=1
                                        ; =>  This Inner Loop Header: Depth=2
	s_add_u32 s22, s16, s18
	s_addc_u32 s23, s17, s19
	global_load_ubyte v2, v3, s[22:23]
	s_add_u32 s18, s18, 1
	s_addc_u32 s19, s19, 0
	s_waitcnt vmcnt(0)
	v_and_b32_e32 v2, 0xffff, v2
	v_lshlrev_b64 v[5:6], s4, v[2:3]
	s_add_u32 s4, s4, 8
	s_addc_u32 s5, s5, 0
	v_or_b32_e32 v19, v5, v19
	s_cmp_lg_u32 s21, s18
	v_or_b32_e32 v20, v6, v20
	s_cbranch_scc1 .LBB3_71
	s_branch .LBB3_74
.LBB3_72:                               ;   in Loop: Header=BB3_36 Depth=1
	s_mov_b32 s20, 0
	s_branch .LBB3_75
.LBB3_73:                               ;   in Loop: Header=BB3_36 Depth=1
	v_mov_b32_e32 v19, 0
	v_mov_b32_e32 v20, 0
.LBB3_74:                               ;   in Loop: Header=BB3_36 Depth=1
	s_mov_b64 s[4:5], s[16:17]
	s_mov_b32 s20, 0
	s_cbranch_execnz .LBB3_76
.LBB3_75:                               ;   in Loop: Header=BB3_36 Depth=1
	global_load_dwordx2 v[19:20], v3, s[16:17]
	s_add_i32 s20, s21, -8
.LBB3_76:                               ;   in Loop: Header=BB3_36 Depth=1
	s_add_u32 s16, s4, 8
	s_addc_u32 s17, s5, 0
	s_cmp_gt_u32 s20, 7
	s_cbranch_scc1 .LBB3_80
; %bb.77:                               ;   in Loop: Header=BB3_36 Depth=1
	s_cmp_eq_u32 s20, 0
	s_cbranch_scc1 .LBB3_81
; %bb.78:                               ;   in Loop: Header=BB3_36 Depth=1
	v_mov_b32_e32 v21, 0
	s_mov_b64 s[16:17], 0
	v_mov_b32_e32 v22, 0
	s_mov_b64 s[18:19], 0
.LBB3_79:                               ;   Parent Loop BB3_36 Depth=1
                                        ; =>  This Inner Loop Header: Depth=2
	s_add_u32 s22, s4, s18
	s_addc_u32 s23, s5, s19
	global_load_ubyte v2, v3, s[22:23]
	s_add_u32 s18, s18, 1
	s_addc_u32 s19, s19, 0
	s_waitcnt vmcnt(0)
	v_and_b32_e32 v2, 0xffff, v2
	v_lshlrev_b64 v[5:6], s16, v[2:3]
	s_add_u32 s16, s16, 8
	s_addc_u32 s17, s17, 0
	v_or_b32_e32 v21, v5, v21
	s_cmp_lg_u32 s20, s18
	v_or_b32_e32 v22, v6, v22
	s_cbranch_scc1 .LBB3_79
	s_branch .LBB3_82
.LBB3_80:                               ;   in Loop: Header=BB3_36 Depth=1
                                        ; implicit-def: $vgpr21_vgpr22
	s_mov_b32 s21, 0
	s_branch .LBB3_83
.LBB3_81:                               ;   in Loop: Header=BB3_36 Depth=1
	v_mov_b32_e32 v21, 0
	v_mov_b32_e32 v22, 0
.LBB3_82:                               ;   in Loop: Header=BB3_36 Depth=1
	s_mov_b64 s[16:17], s[4:5]
	s_mov_b32 s21, 0
	s_cbranch_execnz .LBB3_84
.LBB3_83:                               ;   in Loop: Header=BB3_36 Depth=1
	global_load_dwordx2 v[21:22], v3, s[4:5]
	s_add_i32 s21, s20, -8
.LBB3_84:                               ;   in Loop: Header=BB3_36 Depth=1
	s_cmp_gt_u32 s21, 7
	s_cbranch_scc1 .LBB3_88
; %bb.85:                               ;   in Loop: Header=BB3_36 Depth=1
	s_cmp_eq_u32 s21, 0
	s_cbranch_scc1 .LBB3_89
; %bb.86:                               ;   in Loop: Header=BB3_36 Depth=1
	v_mov_b32_e32 v23, 0
	s_mov_b64 s[4:5], 0
	v_mov_b32_e32 v24, 0
	s_mov_b64 s[18:19], s[16:17]
.LBB3_87:                               ;   Parent Loop BB3_36 Depth=1
                                        ; =>  This Inner Loop Header: Depth=2
	global_load_ubyte v2, v3, s[18:19]
	s_add_i32 s21, s21, -1
	s_waitcnt vmcnt(0)
	v_and_b32_e32 v2, 0xffff, v2
	v_lshlrev_b64 v[5:6], s4, v[2:3]
	s_add_u32 s4, s4, 8
	s_addc_u32 s5, s5, 0
	s_add_u32 s18, s18, 1
	s_addc_u32 s19, s19, 0
	v_or_b32_e32 v23, v5, v23
	s_cmp_lg_u32 s21, 0
	v_or_b32_e32 v24, v6, v24
	s_cbranch_scc1 .LBB3_87
	s_branch .LBB3_90
.LBB3_88:                               ;   in Loop: Header=BB3_36 Depth=1
	s_branch .LBB3_91
.LBB3_89:                               ;   in Loop: Header=BB3_36 Depth=1
	v_mov_b32_e32 v23, 0
	v_mov_b32_e32 v24, 0
.LBB3_90:                               ;   in Loop: Header=BB3_36 Depth=1
	s_cbranch_execnz .LBB3_92
.LBB3_91:                               ;   in Loop: Header=BB3_36 Depth=1
	global_load_dwordx2 v[23:24], v3, s[16:17]
.LBB3_92:                               ;   in Loop: Header=BB3_36 Depth=1
	v_readfirstlane_b32 s4, v32
	v_mov_b32_e32 v5, 0
	v_mov_b32_e32 v6, 0
	v_cmp_eq_u32_e64 s[4:5], s4, v32
	s_and_saveexec_b64 s[16:17], s[4:5]
	s_cbranch_execz .LBB3_98
; %bb.93:                               ;   in Loop: Header=BB3_36 Depth=1
	global_load_dwordx2 v[27:28], v3, s[6:7] offset:24 glc
	s_waitcnt vmcnt(0)
	buffer_wbinvl1_vol
	global_load_dwordx2 v[5:6], v3, s[6:7] offset:40
	global_load_dwordx2 v[25:26], v3, s[6:7]
	s_waitcnt vmcnt(1)
	v_and_b32_e32 v2, v5, v27
	v_and_b32_e32 v5, v6, v28
	v_mul_lo_u32 v5, v5, 24
	v_mul_hi_u32 v6, v2, 24
	v_mul_lo_u32 v2, v2, 24
	v_add_u32_e32 v6, v6, v5
	s_waitcnt vmcnt(0)
	v_add_co_u32_e32 v5, vcc, v25, v2
	v_addc_co_u32_e32 v6, vcc, v26, v6, vcc
	global_load_dwordx2 v[25:26], v[5:6], off glc
	s_waitcnt vmcnt(0)
	global_atomic_cmpswap_x2 v[5:6], v3, v[25:28], s[6:7] offset:24 glc
	s_waitcnt vmcnt(0)
	buffer_wbinvl1_vol
	v_cmp_ne_u64_e32 vcc, v[5:6], v[27:28]
	s_and_saveexec_b64 s[18:19], vcc
	s_cbranch_execz .LBB3_97
; %bb.94:                               ;   in Loop: Header=BB3_36 Depth=1
	s_mov_b64 s[20:21], 0
.LBB3_95:                               ;   Parent Loop BB3_36 Depth=1
                                        ; =>  This Inner Loop Header: Depth=2
	s_sleep 1
	global_load_dwordx2 v[25:26], v3, s[6:7] offset:40
	global_load_dwordx2 v[29:30], v3, s[6:7]
	v_mov_b32_e32 v28, v6
	v_mov_b32_e32 v27, v5
	s_waitcnt vmcnt(1)
	v_and_b32_e32 v2, v25, v27
	s_waitcnt vmcnt(0)
	v_mad_u64_u32 v[5:6], s[22:23], v2, 24, v[29:30]
	v_and_b32_e32 v25, v26, v28
	v_mov_b32_e32 v2, v6
	v_mad_u64_u32 v[25:26], s[22:23], v25, 24, v[2:3]
	v_mov_b32_e32 v6, v25
	global_load_dwordx2 v[25:26], v[5:6], off glc
	s_waitcnt vmcnt(0)
	global_atomic_cmpswap_x2 v[5:6], v3, v[25:28], s[6:7] offset:24 glc
	s_waitcnt vmcnt(0)
	buffer_wbinvl1_vol
	v_cmp_eq_u64_e32 vcc, v[5:6], v[27:28]
	s_or_b64 s[20:21], vcc, s[20:21]
	s_andn2_b64 exec, exec, s[20:21]
	s_cbranch_execnz .LBB3_95
; %bb.96:                               ;   in Loop: Header=BB3_36 Depth=1
	s_or_b64 exec, exec, s[20:21]
.LBB3_97:                               ;   in Loop: Header=BB3_36 Depth=1
	s_or_b64 exec, exec, s[18:19]
.LBB3_98:                               ;   in Loop: Header=BB3_36 Depth=1
	s_or_b64 exec, exec, s[16:17]
	global_load_dwordx2 v[29:30], v3, s[6:7] offset:40
	global_load_dwordx4 v[25:28], v3, s[6:7]
	v_readfirstlane_b32 s17, v6
	v_readfirstlane_b32 s16, v5
	s_mov_b64 s[18:19], exec
	s_waitcnt vmcnt(1)
	v_readfirstlane_b32 s20, v29
	v_readfirstlane_b32 s21, v30
	s_and_b64 s[20:21], s[20:21], s[16:17]
	s_mul_i32 s22, s21, 24
	s_mul_hi_u32 s23, s20, 24
	s_mul_i32 s24, s20, 24
	s_add_i32 s22, s23, s22
	v_mov_b32_e32 v2, s22
	s_waitcnt vmcnt(0)
	v_add_co_u32_e32 v29, vcc, s24, v25
	v_addc_co_u32_e32 v30, vcc, v26, v2, vcc
	s_and_saveexec_b64 s[22:23], s[4:5]
	s_cbranch_execz .LBB3_100
; %bb.99:                               ;   in Loop: Header=BB3_36 Depth=1
	v_mov_b32_e32 v5, s18
	v_mov_b32_e32 v6, s19
	global_store_dwordx4 v[29:30], v[5:8], off offset:8
.LBB3_100:                              ;   in Loop: Header=BB3_36 Depth=1
	s_or_b64 exec, exec, s[22:23]
	s_lshl_b64 s[18:19], s[20:21], 12
	v_cmp_gt_u64_e64 s[20:21], s[12:13], 56
	v_mov_b32_e32 v2, s19
	v_add_co_u32_e32 v27, vcc, s18, v27
	s_and_b64 s[18:19], s[20:21], exec
	s_cselect_b32 s18, 0, 2
	s_lshl_b32 s19, s14, 2
	v_addc_co_u32_e32 v28, vcc, v28, v2, vcc
	s_add_i32 s19, s19, 28
	v_and_b32_e32 v2, 0xffffff1f, v9
	s_and_b32 s19, s19, 0x1e0
	v_or_b32_e32 v2, s18, v2
	v_or_b32_e32 v9, s19, v2
	v_readfirstlane_b32 s18, v27
	v_readfirstlane_b32 s19, v28
	s_nop 4
	global_store_dwordx4 v31, v[9:12], s[18:19]
	global_store_dwordx4 v31, v[13:16], s[18:19] offset:16
	global_store_dwordx4 v31, v[17:20], s[18:19] offset:32
	global_store_dwordx4 v31, v[21:24], s[18:19] offset:48
	s_and_saveexec_b64 s[18:19], s[4:5]
	s_cbranch_execz .LBB3_108
; %bb.101:                              ;   in Loop: Header=BB3_36 Depth=1
	global_load_dwordx2 v[13:14], v3, s[6:7] offset:32 glc
	global_load_dwordx2 v[5:6], v3, s[6:7] offset:40
	v_mov_b32_e32 v11, s16
	v_mov_b32_e32 v12, s17
	s_waitcnt vmcnt(0)
	v_readfirstlane_b32 s20, v5
	v_readfirstlane_b32 s21, v6
	s_and_b64 s[20:21], s[20:21], s[16:17]
	s_mul_i32 s21, s21, 24
	s_mul_hi_u32 s22, s20, 24
	s_mul_i32 s20, s20, 24
	s_add_i32 s21, s22, s21
	v_mov_b32_e32 v2, s21
	v_add_co_u32_e32 v5, vcc, s20, v25
	v_addc_co_u32_e32 v6, vcc, v26, v2, vcc
	global_store_dwordx2 v[5:6], v[13:14], off
	s_waitcnt vmcnt(0)
	global_atomic_cmpswap_x2 v[11:12], v3, v[11:14], s[6:7] offset:32 glc
	s_waitcnt vmcnt(0)
	v_cmp_ne_u64_e32 vcc, v[11:12], v[13:14]
	s_and_saveexec_b64 s[20:21], vcc
	s_cbranch_execz .LBB3_104
; %bb.102:                              ;   in Loop: Header=BB3_36 Depth=1
	s_mov_b64 s[22:23], 0
.LBB3_103:                              ;   Parent Loop BB3_36 Depth=1
                                        ; =>  This Inner Loop Header: Depth=2
	s_sleep 1
	global_store_dwordx2 v[5:6], v[11:12], off
	v_mov_b32_e32 v9, s16
	v_mov_b32_e32 v10, s17
	s_waitcnt vmcnt(0)
	global_atomic_cmpswap_x2 v[9:10], v3, v[9:12], s[6:7] offset:32 glc
	s_waitcnt vmcnt(0)
	v_cmp_eq_u64_e32 vcc, v[9:10], v[11:12]
	v_mov_b32_e32 v12, v10
	s_or_b64 s[22:23], vcc, s[22:23]
	v_mov_b32_e32 v11, v9
	s_andn2_b64 exec, exec, s[22:23]
	s_cbranch_execnz .LBB3_103
.LBB3_104:                              ;   in Loop: Header=BB3_36 Depth=1
	s_or_b64 exec, exec, s[20:21]
	global_load_dwordx2 v[5:6], v3, s[6:7] offset:16
	s_mov_b64 s[22:23], exec
	v_mbcnt_lo_u32_b32 v2, s22, 0
	v_mbcnt_hi_u32_b32 v2, s23, v2
	v_cmp_eq_u32_e32 vcc, 0, v2
	s_and_saveexec_b64 s[20:21], vcc
	s_cbranch_execz .LBB3_106
; %bb.105:                              ;   in Loop: Header=BB3_36 Depth=1
	s_bcnt1_i32_b64 s22, s[22:23]
	v_mov_b32_e32 v2, s22
	s_waitcnt vmcnt(0)
	global_atomic_add_x2 v[5:6], v[2:3], off offset:8
.LBB3_106:                              ;   in Loop: Header=BB3_36 Depth=1
	s_or_b64 exec, exec, s[20:21]
	s_waitcnt vmcnt(0)
	global_load_dwordx2 v[9:10], v[5:6], off offset:16
	s_waitcnt vmcnt(0)
	v_cmp_eq_u64_e32 vcc, 0, v[9:10]
	s_cbranch_vccnz .LBB3_108
; %bb.107:                              ;   in Loop: Header=BB3_36 Depth=1
	global_load_dword v2, v[5:6], off offset:24
	s_waitcnt vmcnt(0)
	v_readfirstlane_b32 s20, v2
	s_and_b32 m0, s20, 0xffffff
	global_store_dwordx2 v[9:10], v[2:3], off
	s_sendmsg sendmsg(MSG_INTERRUPT)
.LBB3_108:                              ;   in Loop: Header=BB3_36 Depth=1
	s_or_b64 exec, exec, s[18:19]
	v_add_co_u32_e32 v5, vcc, v27, v31
	v_addc_co_u32_e32 v6, vcc, 0, v28, vcc
	s_branch .LBB3_112
.LBB3_109:                              ;   in Loop: Header=BB3_112 Depth=2
	s_or_b64 exec, exec, s[18:19]
	v_readfirstlane_b32 s18, v2
	s_cmp_eq_u32 s18, 0
	s_cbranch_scc1 .LBB3_111
; %bb.110:                              ;   in Loop: Header=BB3_112 Depth=2
	s_sleep 1
	s_cbranch_execnz .LBB3_112
	s_branch .LBB3_114
.LBB3_111:                              ;   in Loop: Header=BB3_36 Depth=1
	s_branch .LBB3_114
.LBB3_112:                              ;   Parent Loop BB3_36 Depth=1
                                        ; =>  This Inner Loop Header: Depth=2
	v_mov_b32_e32 v2, 1
	s_and_saveexec_b64 s[18:19], s[4:5]
	s_cbranch_execz .LBB3_109
; %bb.113:                              ;   in Loop: Header=BB3_112 Depth=2
	global_load_dword v2, v[29:30], off offset:20 glc
	s_waitcnt vmcnt(0)
	buffer_wbinvl1_vol
	v_and_b32_e32 v2, 1, v2
	s_branch .LBB3_109
.LBB3_114:                              ;   in Loop: Header=BB3_36 Depth=1
	global_load_dwordx4 v[9:12], v[5:6], off
	s_and_saveexec_b64 s[18:19], s[4:5]
	s_cbranch_execz .LBB3_35
; %bb.115:                              ;   in Loop: Header=BB3_36 Depth=1
	global_load_dwordx2 v[5:6], v3, s[6:7] offset:40
	global_load_dwordx2 v[15:16], v3, s[6:7] offset:24 glc
	global_load_dwordx2 v[11:12], v3, s[6:7]
	s_waitcnt vmcnt(2)
	v_readfirstlane_b32 s20, v5
	v_readfirstlane_b32 s21, v6
	s_add_u32 s22, s20, 1
	s_addc_u32 s23, s21, 0
	s_add_u32 s4, s22, s16
	s_addc_u32 s5, s23, s17
	s_cmp_eq_u64 s[4:5], 0
	s_cselect_b32 s5, s23, s5
	s_cselect_b32 s4, s22, s4
	s_and_b64 s[16:17], s[4:5], s[20:21]
	s_mul_i32 s17, s17, 24
	s_mul_hi_u32 s20, s16, 24
	s_mul_i32 s16, s16, 24
	s_add_i32 s17, s20, s17
	v_mov_b32_e32 v2, s17
	s_waitcnt vmcnt(0)
	v_add_co_u32_e32 v5, vcc, s16, v11
	v_addc_co_u32_e32 v6, vcc, v12, v2, vcc
	v_mov_b32_e32 v13, s4
	global_store_dwordx2 v[5:6], v[15:16], off
	v_mov_b32_e32 v14, s5
	s_waitcnt vmcnt(0)
	global_atomic_cmpswap_x2 v[13:14], v3, v[13:16], s[6:7] offset:24 glc
	s_waitcnt vmcnt(0)
	v_cmp_ne_u64_e32 vcc, v[13:14], v[15:16]
	s_and_b64 exec, exec, vcc
	s_cbranch_execz .LBB3_35
; %bb.116:                              ;   in Loop: Header=BB3_36 Depth=1
	s_mov_b64 s[16:17], 0
.LBB3_117:                              ;   Parent Loop BB3_36 Depth=1
                                        ; =>  This Inner Loop Header: Depth=2
	s_sleep 1
	global_store_dwordx2 v[5:6], v[13:14], off
	v_mov_b32_e32 v11, s4
	v_mov_b32_e32 v12, s5
	s_waitcnt vmcnt(0)
	global_atomic_cmpswap_x2 v[11:12], v3, v[11:14], s[6:7] offset:24 glc
	s_waitcnt vmcnt(0)
	v_cmp_eq_u64_e32 vcc, v[11:12], v[13:14]
	v_mov_b32_e32 v14, v12
	s_or_b64 s[16:17], vcc, s[16:17]
	v_mov_b32_e32 v13, v11
	s_andn2_b64 exec, exec, s[16:17]
	s_cbranch_execnz .LBB3_117
	s_branch .LBB3_35
.LBB3_118:
	v_mov_b32_e32 v53, v4
	s_branch .LBB3_146
.LBB3_119:
	v_mov_b32_e32 v53, v4
	s_cbranch_execz .LBB3_146
; %bb.120:
	v_readfirstlane_b32 s4, v32
	s_waitcnt vmcnt(0)
	v_mov_b32_e32 v8, 0
	v_mov_b32_e32 v9, 0
	v_cmp_eq_u32_e64 s[4:5], s4, v32
	s_and_saveexec_b64 s[10:11], s[4:5]
	s_cbranch_execz .LBB3_126
; %bb.121:
	v_mov_b32_e32 v2, 0
	global_load_dwordx2 v[5:6], v2, s[6:7] offset:24 glc
	s_waitcnt vmcnt(0)
	buffer_wbinvl1_vol
	global_load_dwordx2 v[3:4], v2, s[6:7] offset:40
	global_load_dwordx2 v[7:8], v2, s[6:7]
	s_waitcnt vmcnt(1)
	v_and_b32_e32 v3, v3, v5
	v_and_b32_e32 v4, v4, v6
	v_mul_lo_u32 v4, v4, 24
	v_mul_hi_u32 v9, v3, 24
	v_mul_lo_u32 v3, v3, 24
	v_add_u32_e32 v4, v9, v4
	s_waitcnt vmcnt(0)
	v_add_co_u32_e32 v3, vcc, v7, v3
	v_addc_co_u32_e32 v4, vcc, v8, v4, vcc
	global_load_dwordx2 v[3:4], v[3:4], off glc
	s_waitcnt vmcnt(0)
	global_atomic_cmpswap_x2 v[8:9], v2, v[3:6], s[6:7] offset:24 glc
	s_waitcnt vmcnt(0)
	buffer_wbinvl1_vol
	v_cmp_ne_u64_e32 vcc, v[8:9], v[5:6]
	s_and_saveexec_b64 s[12:13], vcc
	s_cbranch_execz .LBB3_125
; %bb.122:
	s_mov_b64 s[14:15], 0
.LBB3_123:                              ; =>This Inner Loop Header: Depth=1
	s_sleep 1
	global_load_dwordx2 v[3:4], v2, s[6:7] offset:40
	global_load_dwordx2 v[10:11], v2, s[6:7]
	v_mov_b32_e32 v5, v8
	v_mov_b32_e32 v6, v9
	s_waitcnt vmcnt(1)
	v_and_b32_e32 v3, v3, v5
	s_waitcnt vmcnt(0)
	v_mad_u64_u32 v[7:8], s[16:17], v3, 24, v[10:11]
	v_and_b32_e32 v4, v4, v6
	v_mov_b32_e32 v3, v8
	v_mad_u64_u32 v[3:4], s[16:17], v4, 24, v[3:4]
	v_mov_b32_e32 v8, v3
	global_load_dwordx2 v[3:4], v[7:8], off glc
	s_waitcnt vmcnt(0)
	global_atomic_cmpswap_x2 v[8:9], v2, v[3:6], s[6:7] offset:24 glc
	s_waitcnt vmcnt(0)
	buffer_wbinvl1_vol
	v_cmp_eq_u64_e32 vcc, v[8:9], v[5:6]
	s_or_b64 s[14:15], vcc, s[14:15]
	s_andn2_b64 exec, exec, s[14:15]
	s_cbranch_execnz .LBB3_123
; %bb.124:
	s_or_b64 exec, exec, s[14:15]
.LBB3_125:
	s_or_b64 exec, exec, s[12:13]
.LBB3_126:
	s_or_b64 exec, exec, s[10:11]
	v_mov_b32_e32 v2, 0
	global_load_dwordx2 v[10:11], v2, s[6:7] offset:40
	global_load_dwordx4 v[4:7], v2, s[6:7]
	v_readfirstlane_b32 s11, v9
	v_readfirstlane_b32 s10, v8
	s_mov_b64 s[12:13], exec
	s_waitcnt vmcnt(1)
	v_readfirstlane_b32 s14, v10
	v_readfirstlane_b32 s15, v11
	s_and_b64 s[14:15], s[14:15], s[10:11]
	s_mul_i32 s16, s15, 24
	s_mul_hi_u32 s17, s14, 24
	s_mul_i32 s18, s14, 24
	s_add_i32 s16, s17, s16
	v_mov_b32_e32 v3, s16
	s_waitcnt vmcnt(0)
	v_add_co_u32_e32 v8, vcc, s18, v4
	v_addc_co_u32_e32 v9, vcc, v5, v3, vcc
	s_and_saveexec_b64 s[16:17], s[4:5]
	s_cbranch_execz .LBB3_128
; %bb.127:
	v_mov_b32_e32 v10, s12
	v_mov_b32_e32 v11, s13
	;; [unrolled: 1-line block ×4, first 2 shown]
	global_store_dwordx4 v[8:9], v[10:13], off offset:8
.LBB3_128:
	s_or_b64 exec, exec, s[16:17]
	s_lshl_b64 s[12:13], s[14:15], 12
	v_mov_b32_e32 v3, s13
	v_add_co_u32_e32 v6, vcc, s12, v6
	v_addc_co_u32_e32 v7, vcc, v7, v3, vcc
	s_movk_i32 s12, 0xff1d
	v_and_or_b32 v0, v0, s12, 34
	s_mov_b32 s12, 0
	v_mov_b32_e32 v3, v2
	v_readfirstlane_b32 s16, v6
	v_readfirstlane_b32 s17, v7
	s_mov_b32 s13, s12
	s_mov_b32 s14, s12
	;; [unrolled: 1-line block ×3, first 2 shown]
	s_nop 1
	global_store_dwordx4 v31, v[0:3], s[16:17]
	s_nop 0
	v_mov_b32_e32 v0, s12
	v_mov_b32_e32 v1, s13
	;; [unrolled: 1-line block ×4, first 2 shown]
	global_store_dwordx4 v31, v[0:3], s[16:17] offset:16
	global_store_dwordx4 v31, v[0:3], s[16:17] offset:32
	;; [unrolled: 1-line block ×3, first 2 shown]
	s_and_saveexec_b64 s[12:13], s[4:5]
	s_cbranch_execz .LBB3_136
; %bb.129:
	v_mov_b32_e32 v6, 0
	global_load_dwordx2 v[12:13], v6, s[6:7] offset:32 glc
	global_load_dwordx2 v[0:1], v6, s[6:7] offset:40
	v_mov_b32_e32 v10, s10
	v_mov_b32_e32 v11, s11
	s_waitcnt vmcnt(0)
	v_readfirstlane_b32 s14, v0
	v_readfirstlane_b32 s15, v1
	s_and_b64 s[14:15], s[14:15], s[10:11]
	s_mul_i32 s15, s15, 24
	s_mul_hi_u32 s16, s14, 24
	s_mul_i32 s14, s14, 24
	s_add_i32 s15, s16, s15
	v_mov_b32_e32 v0, s15
	v_add_co_u32_e32 v4, vcc, s14, v4
	v_addc_co_u32_e32 v5, vcc, v5, v0, vcc
	global_store_dwordx2 v[4:5], v[12:13], off
	s_waitcnt vmcnt(0)
	global_atomic_cmpswap_x2 v[2:3], v6, v[10:13], s[6:7] offset:32 glc
	s_waitcnt vmcnt(0)
	v_cmp_ne_u64_e32 vcc, v[2:3], v[12:13]
	s_and_saveexec_b64 s[14:15], vcc
	s_cbranch_execz .LBB3_132
; %bb.130:
	s_mov_b64 s[16:17], 0
.LBB3_131:                              ; =>This Inner Loop Header: Depth=1
	s_sleep 1
	global_store_dwordx2 v[4:5], v[2:3], off
	v_mov_b32_e32 v0, s10
	v_mov_b32_e32 v1, s11
	s_waitcnt vmcnt(0)
	global_atomic_cmpswap_x2 v[0:1], v6, v[0:3], s[6:7] offset:32 glc
	s_waitcnt vmcnt(0)
	v_cmp_eq_u64_e32 vcc, v[0:1], v[2:3]
	v_mov_b32_e32 v3, v1
	s_or_b64 s[16:17], vcc, s[16:17]
	v_mov_b32_e32 v2, v0
	s_andn2_b64 exec, exec, s[16:17]
	s_cbranch_execnz .LBB3_131
.LBB3_132:
	s_or_b64 exec, exec, s[14:15]
	v_mov_b32_e32 v3, 0
	global_load_dwordx2 v[0:1], v3, s[6:7] offset:16
	s_mov_b64 s[14:15], exec
	v_mbcnt_lo_u32_b32 v2, s14, 0
	v_mbcnt_hi_u32_b32 v2, s15, v2
	v_cmp_eq_u32_e32 vcc, 0, v2
	s_and_saveexec_b64 s[16:17], vcc
	s_cbranch_execz .LBB3_134
; %bb.133:
	s_bcnt1_i32_b64 s14, s[14:15]
	v_mov_b32_e32 v2, s14
	s_waitcnt vmcnt(0)
	global_atomic_add_x2 v[0:1], v[2:3], off offset:8
.LBB3_134:
	s_or_b64 exec, exec, s[16:17]
	s_waitcnt vmcnt(0)
	global_load_dwordx2 v[2:3], v[0:1], off offset:16
	s_waitcnt vmcnt(0)
	v_cmp_eq_u64_e32 vcc, 0, v[2:3]
	s_cbranch_vccnz .LBB3_136
; %bb.135:
	global_load_dword v0, v[0:1], off offset:24
	v_mov_b32_e32 v1, 0
	s_waitcnt vmcnt(0)
	v_readfirstlane_b32 s14, v0
	s_and_b32 m0, s14, 0xffffff
	global_store_dwordx2 v[2:3], v[0:1], off
	s_sendmsg sendmsg(MSG_INTERRUPT)
.LBB3_136:
	s_or_b64 exec, exec, s[12:13]
	s_branch .LBB3_140
.LBB3_137:                              ;   in Loop: Header=BB3_140 Depth=1
	s_or_b64 exec, exec, s[12:13]
	v_readfirstlane_b32 s12, v0
	s_cmp_eq_u32 s12, 0
	s_cbranch_scc1 .LBB3_139
; %bb.138:                              ;   in Loop: Header=BB3_140 Depth=1
	s_sleep 1
	s_cbranch_execnz .LBB3_140
	s_branch .LBB3_142
.LBB3_139:
	s_branch .LBB3_142
.LBB3_140:                              ; =>This Inner Loop Header: Depth=1
	v_mov_b32_e32 v0, 1
	s_and_saveexec_b64 s[12:13], s[4:5]
	s_cbranch_execz .LBB3_137
; %bb.141:                              ;   in Loop: Header=BB3_140 Depth=1
	global_load_dword v0, v[8:9], off offset:20 glc
	s_waitcnt vmcnt(0)
	buffer_wbinvl1_vol
	v_and_b32_e32 v0, 1, v0
	s_branch .LBB3_137
.LBB3_142:
	s_and_saveexec_b64 s[12:13], s[4:5]
	s_cbranch_execz .LBB3_145
; %bb.143:
	v_mov_b32_e32 v6, 0
	global_load_dwordx2 v[0:1], v6, s[6:7] offset:40
	global_load_dwordx2 v[9:10], v6, s[6:7] offset:24 glc
	global_load_dwordx2 v[2:3], v6, s[6:7]
	s_waitcnt vmcnt(2)
	v_readfirstlane_b32 s14, v0
	v_readfirstlane_b32 s15, v1
	s_add_u32 s16, s14, 1
	s_addc_u32 s17, s15, 0
	s_add_u32 s4, s16, s10
	s_addc_u32 s5, s17, s11
	s_cmp_eq_u64 s[4:5], 0
	s_cselect_b32 s5, s17, s5
	s_cselect_b32 s4, s16, s4
	s_and_b64 s[10:11], s[4:5], s[14:15]
	s_mul_i32 s11, s11, 24
	s_mul_hi_u32 s14, s10, 24
	s_mul_i32 s10, s10, 24
	s_add_i32 s11, s14, s11
	v_mov_b32_e32 v0, s11
	s_waitcnt vmcnt(0)
	v_add_co_u32_e32 v4, vcc, s10, v2
	v_addc_co_u32_e32 v5, vcc, v3, v0, vcc
	v_mov_b32_e32 v7, s4
	global_store_dwordx2 v[4:5], v[9:10], off
	v_mov_b32_e32 v8, s5
	s_waitcnt vmcnt(0)
	global_atomic_cmpswap_x2 v[2:3], v6, v[7:10], s[6:7] offset:24 glc
	s_mov_b64 s[10:11], 0
	s_waitcnt vmcnt(0)
	v_cmp_ne_u64_e32 vcc, v[2:3], v[9:10]
	s_and_b64 exec, exec, vcc
	s_cbranch_execz .LBB3_145
.LBB3_144:                              ; =>This Inner Loop Header: Depth=1
	s_sleep 1
	global_store_dwordx2 v[4:5], v[2:3], off
	v_mov_b32_e32 v0, s4
	v_mov_b32_e32 v1, s5
	s_waitcnt vmcnt(0)
	global_atomic_cmpswap_x2 v[0:1], v6, v[0:3], s[6:7] offset:24 glc
	s_waitcnt vmcnt(0)
	v_cmp_eq_u64_e32 vcc, v[0:1], v[2:3]
	v_mov_b32_e32 v3, v1
	s_or_b64 s[10:11], vcc, s[10:11]
	v_mov_b32_e32 v2, v0
	s_andn2_b64 exec, exec, s[10:11]
	s_cbranch_execnz .LBB3_144
.LBB3_145:
	s_or_b64 exec, exec, s[12:13]
.LBB3_146:
	s_getpc_b64 s[4:5]
	s_add_u32 s4, s4, .str.29@rel32@lo+4
	s_addc_u32 s5, s5, .str.29@rel32@hi+12
	s_getpc_b64 s[6:7]
	s_add_u32 s6, s6, .str.19@rel32@lo+4
	s_addc_u32 s7, s7, .str.19@rel32@hi+12
	s_getpc_b64 s[10:11]
	s_add_u32 s10, s10, __PRETTY_FUNCTION__._ZN7VecsMemIjLi8192EE5fetchEi@rel32@lo+4
	s_addc_u32 s11, s11, __PRETTY_FUNCTION__._ZN7VecsMemIjLi8192EE5fetchEi@rel32@hi+12
	s_getpc_b64 s[12:13]
	s_add_u32 s12, s12, __assert_fail@rel32@lo+4
	s_addc_u32 s13, s13, __assert_fail@rel32@hi+12
	s_waitcnt vmcnt(0)
	v_mov_b32_e32 v0, s4
	v_mov_b32_e32 v1, s5
	;; [unrolled: 1-line block ×7, first 2 shown]
	s_mov_b64 s[26:27], s[8:9]
	s_swappc_b64 s[30:31], s[12:13]
	s_mov_b64 s[8:9], s[26:27]
	s_mov_b64 s[4:5], exec
	v_mov_b32_e32 v4, v53
.LBB3_147:
	s_or_b64 exec, exec, s[42:43]
	s_and_b64 s[68:69], s[4:5], exec
	s_orn2_b64 s[4:5], s[40:41], exec
	s_or_b64 exec, exec, s[28:29]
	s_and_saveexec_b64 s[70:71], s[4:5]
	s_cbranch_execz .LBB3_2
.LBB3_148:
	v_cmp_ne_u64_e32 vcc, 0, v[41:42]
	s_mov_b64 s[4:5], 0
	s_mov_b64 s[26:27], s[68:69]
	s_and_saveexec_b64 s[6:7], vcc
	s_xor_b64 s[50:51], exec, s[6:7]
	s_cbranch_execz .LBB3_660
; %bb.149:
	v_mov_b32_e32 v1, 0
	v_mov_b32_e32 v0, v46
                                        ; implicit-def: $sgpr12_sgpr13
                                        ; implicit-def: $sgpr10_sgpr11
                                        ; implicit-def: $sgpr6_sgpr7
	s_branch .LBB3_151
.LBB3_150:                              ;   in Loop: Header=BB3_151 Depth=1
	s_or_b64 exec, exec, s[14:15]
	s_xor_b64 s[14:15], s[6:7], -1
	s_and_b64 s[16:17], exec, s[10:11]
	s_or_b64 s[4:5], s[16:17], s[4:5]
	s_andn2_b64 s[12:13], s[12:13], exec
	s_and_b64 s[14:15], s[14:15], exec
	s_or_b64 s[12:13], s[12:13], s[14:15]
	s_andn2_b64 exec, exec, s[4:5]
	s_cbranch_execz .LBB3_153
.LBB3_151:                              ; =>This Inner Loop Header: Depth=1
	v_cmp_lt_i32_e32 vcc, 0, v0
	s_or_b64 s[6:7], s[6:7], exec
	s_or_b64 s[10:11], s[10:11], exec
	s_and_saveexec_b64 s[14:15], vcc
	s_cbranch_execz .LBB3_150
; %bb.152:                              ;   in Loop: Header=BB3_151 Depth=1
	v_add_u32_e32 v0, -1, v0
	v_lshlrev_b64 v[2:3], 2, v[0:1]
	s_andn2_b64 s[10:11], s[10:11], exec
	v_add_co_u32_e32 v2, vcc, v58, v2
	v_addc_co_u32_e32 v3, vcc, v59, v3, vcc
	flat_load_dword v2, v[2:3]
	s_andn2_b64 s[6:7], s[6:7], exec
	s_waitcnt vmcnt(0) lgkmcnt(0)
	v_cmp_ne_u32_e32 vcc, 0, v2
	s_and_b64 s[16:17], vcc, exec
	s_or_b64 s[10:11], s[10:11], s[16:17]
	s_branch .LBB3_150
.LBB3_153:
	s_or_b64 exec, exec, s[4:5]
	s_mov_b64 s[10:11], 0
	s_mov_b64 s[6:7], s[68:69]
	s_and_saveexec_b64 s[4:5], s[12:13]
	s_xor_b64 s[80:81], exec, s[4:5]
	s_cbranch_execz .LBB3_654
; %bb.154:
	s_mov_b64 s[6:7], 0
	v_mov_b32_e32 v1, 0
	v_mov_b32_e32 v0, v46
                                        ; implicit-def: $sgpr4_sgpr5
                                        ; implicit-def: $sgpr12_sgpr13
                                        ; implicit-def: $sgpr10_sgpr11
	s_branch .LBB3_156
.LBB3_155:                              ;   in Loop: Header=BB3_156 Depth=1
	s_or_b64 exec, exec, s[14:15]
	s_xor_b64 s[14:15], s[10:11], -1
	s_and_b64 s[16:17], exec, s[12:13]
	s_or_b64 s[6:7], s[16:17], s[6:7]
	s_andn2_b64 s[4:5], s[4:5], exec
	s_and_b64 s[14:15], s[14:15], exec
	s_or_b64 s[4:5], s[4:5], s[14:15]
	s_andn2_b64 exec, exec, s[6:7]
	s_cbranch_execz .LBB3_158
.LBB3_156:                              ; =>This Inner Loop Header: Depth=1
	v_cmp_lt_i32_e32 vcc, 0, v0
	s_or_b64 s[10:11], s[10:11], exec
	s_or_b64 s[12:13], s[12:13], exec
	s_and_saveexec_b64 s[14:15], vcc
	s_cbranch_execz .LBB3_155
; %bb.157:                              ;   in Loop: Header=BB3_156 Depth=1
	v_add_u32_e32 v0, -1, v0
	v_lshlrev_b64 v[2:3], 2, v[0:1]
	s_andn2_b64 s[12:13], s[12:13], exec
	v_add_co_u32_e32 v2, vcc, v56, v2
	v_addc_co_u32_e32 v3, vcc, v57, v3, vcc
	flat_load_dword v2, v[2:3]
	s_andn2_b64 s[10:11], s[10:11], exec
	s_waitcnt vmcnt(0) lgkmcnt(0)
	v_cmp_ne_u32_e32 vcc, -1, v2
	s_and_b64 s[16:17], vcc, exec
	s_or_b64 s[12:13], s[12:13], s[16:17]
	s_branch .LBB3_155
.LBB3_158:
	s_or_b64 exec, exec, s[6:7]
	s_mov_b64 s[28:29], 0
	s_mov_b64 s[40:41], s[68:69]
	s_and_saveexec_b64 s[6:7], s[4:5]
	s_xor_b64 s[6:7], exec, s[6:7]
                                        ; implicit-def: $vgpr62 : SGPR spill to VGPR lane
	v_writelane_b32 v62, s6, 0
	v_writelane_b32 v62, s7, 1
	s_cbranch_execz .LBB3_505
; %bb.159:
	v_cmp_lt_i32_e32 vcc, 0, v4
	s_mov_b64 s[4:5], -1
                                        ; implicit-def: $sgpr86_sgpr87
                                        ; implicit-def: $vgpr53
	s_and_saveexec_b64 s[6:7], vcc
	s_cbranch_execz .LBB3_293
; %bb.160:
	v_cmp_lt_i32_e64 s[86:87], 0, v46
	s_mov_b64 s[10:11], 0
                                        ; implicit-def: $sgpr12_sgpr13
	s_branch .LBB3_163
.LBB3_161:                              ;   in Loop: Header=BB3_163 Depth=1
	s_or_b64 exec, exec, s[20:21]
	s_orn2_b64 s[18:19], s[16:17], exec
	s_orn2_b64 s[16:17], s[4:5], exec
.LBB3_162:                              ;   in Loop: Header=BB3_163 Depth=1
	s_or_b64 exec, exec, s[14:15]
	s_xor_b64 s[4:5], s[18:19], -1
	s_and_b64 s[14:15], exec, s[16:17]
	s_or_b64 s[10:11], s[14:15], s[10:11]
	s_andn2_b64 s[12:13], s[12:13], exec
	s_and_b64 s[4:5], s[4:5], exec
	v_add_u32_e32 v4, -1, v4
	s_or_b64 s[12:13], s[12:13], s[4:5]
	s_andn2_b64 exec, exec, s[10:11]
	s_cbranch_execz .LBB3_292
.LBB3_163:                              ; =>This Loop Header: Depth=1
                                        ;     Child Loop BB3_170 Depth 2
                                        ;       Child Loop BB3_173 Depth 3
                                        ;     Child Loop BB3_184 Depth 2
                                        ;     Child Loop BB3_193 Depth 2
	;; [unrolled: 1-line block ×10, first 2 shown]
                                        ;       Child Loop BB3_276 Depth 3
                                        ;     Child Loop BB3_286 Depth 2
	v_cmp_lt_i32_e32 vcc, 2, v4
	s_mov_b64 s[4:5], 0
                                        ; implicit-def: $vgpr53
	s_and_saveexec_b64 s[14:15], vcc
	s_xor_b64 s[14:15], exec, s[14:15]
	s_cbranch_execz .LBB3_207
; %bb.164:                              ;   in Loop: Header=BB3_163 Depth=1
	v_cmp_lt_i32_e32 vcc, 3, v4
                                        ; implicit-def: $vgpr53
	s_and_saveexec_b64 s[16:17], vcc
	s_xor_b64 s[16:17], exec, s[16:17]
	s_cbranch_execz .LBB3_198
; %bb.165:                              ;   in Loop: Header=BB3_163 Depth=1
	v_cmp_lt_i32_e32 vcc, 4, v4
                                        ; implicit-def: $vgpr53
	s_and_saveexec_b64 s[18:19], vcc
	s_xor_b64 s[18:19], exec, s[18:19]
	s_cbranch_execz .LBB3_189
; %bb.166:                              ;   in Loop: Header=BB3_163 Depth=1
	v_cmp_ne_u32_e32 vcc, 5, v4
	s_and_saveexec_b64 s[20:21], vcc
	s_xor_b64 s[20:21], exec, s[20:21]
	s_cbranch_execz .LBB3_180
; %bb.167:                              ;   in Loop: Header=BB3_163 Depth=1
	s_mov_b64 s[4:5], -1
	s_and_saveexec_b64 s[22:23], s[86:87]
	s_cbranch_execz .LBB3_179
; %bb.168:                              ;   in Loop: Header=BB3_163 Depth=1
	v_add_u32_e32 v0, -6, v4
	v_lshlrev_b32_e64 v2, v0, 1
	v_cmp_ne_u32_e32 vcc, 31, v0
	v_lshlrev_b32_e64 v0, v0, 2
	v_ashrrev_i32_e32 v1, 31, v0
	v_ashrrev_i32_e32 v3, 31, v2
	v_max_i32_e32 v11, 1, v2
	v_lshlrev_b64 v[2:3], 2, v[2:3]
	v_lshlrev_b64 v[5:6], 2, v[0:1]
	v_mov_b32_e32 v7, v58
	v_mov_b32_e32 v1, 0
	s_mov_b64 s[24:25], 0
	v_mov_b32_e32 v8, v59
                                        ; implicit-def: $sgpr26_sgpr27
	s_branch .LBB3_170
.LBB3_169:                              ;   in Loop: Header=BB3_170 Depth=2
	s_or_b64 exec, exec, s[42:43]
	s_xor_b64 s[4:5], s[40:41], -1
	s_and_b64 s[28:29], exec, s[28:29]
	s_or_b64 s[24:25], s[28:29], s[24:25]
	s_andn2_b64 s[26:27], s[26:27], exec
	s_and_b64 s[4:5], s[4:5], exec
	s_or_b64 s[26:27], s[26:27], s[4:5]
	s_andn2_b64 exec, exec, s[24:25]
	s_cbranch_execz .LBB3_178
.LBB3_170:                              ;   Parent Loop BB3_163 Depth=1
                                        ; =>  This Loop Header: Depth=2
                                        ;       Child Loop BB3_173 Depth 3
	s_mov_b64 s[28:29], -1
	s_mov_b64 s[4:5], -1
	s_and_saveexec_b64 s[40:41], vcc
	s_cbranch_execz .LBB3_176
; %bb.171:                              ;   in Loop: Header=BB3_170 Depth=2
	v_mov_b32_e32 v10, v8
	s_mov_b64 s[42:43], 0
	v_mov_b32_e32 v9, v7
	v_mov_b32_e32 v12, v11
                                        ; implicit-def: $sgpr44_sgpr45
                                        ; implicit-def: $sgpr56_sgpr57
                                        ; implicit-def: $sgpr46_sgpr47
	s_branch .LBB3_173
.LBB3_172:                              ;   in Loop: Header=BB3_173 Depth=3
	s_or_b64 exec, exec, s[58:59]
	s_xor_b64 s[4:5], s[46:47], -1
	s_and_b64 s[58:59], exec, s[56:57]
	s_or_b64 s[42:43], s[58:59], s[42:43]
	s_andn2_b64 s[44:45], s[44:45], exec
	s_and_b64 s[4:5], s[4:5], exec
	s_or_b64 s[44:45], s[44:45], s[4:5]
	s_andn2_b64 exec, exec, s[42:43]
	s_cbranch_execz .LBB3_175
.LBB3_173:                              ;   Parent Loop BB3_163 Depth=1
                                        ;     Parent Loop BB3_170 Depth=2
                                        ; =>    This Inner Loop Header: Depth=3
	v_add_co_u32_e64 v13, s[4:5], v9, v2
	v_addc_co_u32_e64 v14, s[4:5], v10, v3, s[4:5]
	flat_load_dword v15, v[9:10]
	s_nop 0
	flat_load_dword v13, v[13:14]
	s_or_b64 s[46:47], s[46:47], exec
	s_or_b64 s[56:57], s[56:57], exec
	s_waitcnt vmcnt(0) lgkmcnt(0)
	v_cmp_eq_u32_e64 s[4:5], v15, v13
	s_and_saveexec_b64 s[58:59], s[4:5]
	s_cbranch_execz .LBB3_172
; %bb.174:                              ;   in Loop: Header=BB3_173 Depth=3
	v_add_co_u32_e64 v9, s[4:5], 4, v9
	v_add_u32_e32 v12, -1, v12
	v_addc_co_u32_e64 v10, s[4:5], 0, v10, s[4:5]
	v_cmp_eq_u32_e64 s[4:5], 0, v12
	s_andn2_b64 s[56:57], s[56:57], exec
	s_and_b64 s[4:5], s[4:5], exec
	s_andn2_b64 s[46:47], s[46:47], exec
	s_or_b64 s[56:57], s[56:57], s[4:5]
	s_branch .LBB3_172
.LBB3_175:                              ;   in Loop: Header=BB3_170 Depth=2
	s_or_b64 exec, exec, s[42:43]
	s_orn2_b64 s[4:5], s[44:45], exec
.LBB3_176:                              ;   in Loop: Header=BB3_170 Depth=2
	s_or_b64 exec, exec, s[40:41]
	s_mov_b64 s[40:41], -1
	s_and_saveexec_b64 s[42:43], s[4:5]
	s_cbranch_execz .LBB3_169
; %bb.177:                              ;   in Loop: Header=BB3_170 Depth=2
	v_add_co_u32_e64 v7, s[4:5], v7, v5
	v_add_u32_e32 v1, v1, v0
	v_addc_co_u32_e64 v8, s[4:5], v8, v6, s[4:5]
	v_cmp_ge_i32_e64 s[4:5], v1, v46
	s_xor_b64 s[40:41], exec, -1
	s_orn2_b64 s[28:29], s[4:5], exec
	s_branch .LBB3_169
.LBB3_178:                              ;   in Loop: Header=BB3_163 Depth=1
	s_or_b64 exec, exec, s[24:25]
	s_orn2_b64 s[4:5], s[26:27], exec
.LBB3_179:                              ;   in Loop: Header=BB3_163 Depth=1
	s_or_b64 exec, exec, s[22:23]
	s_and_b64 s[4:5], s[4:5], exec
.LBB3_180:                              ;   in Loop: Header=BB3_163 Depth=1
	s_or_saveexec_b64 s[20:21], s[20:21]
	v_mov_b32_e32 v53, v4
	s_xor_b64 exec, exec, s[20:21]
	s_cbranch_execz .LBB3_188
; %bb.181:                              ;   in Loop: Header=BB3_163 Depth=1
	s_mov_b64 s[24:25], -1
	s_and_saveexec_b64 s[22:23], s[86:87]
	s_cbranch_execz .LBB3_187
; %bb.182:                              ;   in Loop: Header=BB3_163 Depth=1
	v_mov_b32_e32 v0, v58
	s_mov_b64 s[24:25], 0
	v_mov_b32_e32 v1, v59
	v_mov_b32_e32 v2, v46
                                        ; implicit-def: $sgpr26_sgpr27
                                        ; implicit-def: $sgpr40_sgpr41
                                        ; implicit-def: $sgpr28_sgpr29
	s_branch .LBB3_184
.LBB3_183:                              ;   in Loop: Header=BB3_184 Depth=2
	s_or_b64 exec, exec, s[42:43]
	s_xor_b64 s[42:43], s[28:29], -1
	s_and_b64 s[44:45], exec, s[40:41]
	s_or_b64 s[24:25], s[44:45], s[24:25]
	s_andn2_b64 s[26:27], s[26:27], exec
	s_and_b64 s[42:43], s[42:43], exec
	s_or_b64 s[26:27], s[26:27], s[42:43]
	s_andn2_b64 exec, exec, s[24:25]
	s_cbranch_execz .LBB3_186
.LBB3_184:                              ;   Parent Loop BB3_163 Depth=1
                                        ; =>  This Inner Loop Header: Depth=2
	flat_load_dword v3, v[0:1]
	s_or_b64 s[28:29], s[28:29], exec
	s_or_b64 s[40:41], s[40:41], exec
	s_waitcnt vmcnt(0) lgkmcnt(0)
	v_cmp_eq_u32_sdwa s[44:45], v3, v3 src0_sel:WORD_0 src1_sel:WORD_1
	s_and_saveexec_b64 s[42:43], s[44:45]
	s_cbranch_execz .LBB3_183
; %bb.185:                              ;   in Loop: Header=BB3_184 Depth=2
	v_add_co_u32_e32 v0, vcc, 4, v0
	v_add_u32_e32 v2, -1, v2
	v_addc_co_u32_e32 v1, vcc, 0, v1, vcc
	v_cmp_eq_u32_e32 vcc, 0, v2
	s_andn2_b64 s[40:41], s[40:41], exec
	s_and_b64 s[44:45], vcc, exec
	s_andn2_b64 s[28:29], s[28:29], exec
	s_or_b64 s[40:41], s[40:41], s[44:45]
	s_branch .LBB3_183
.LBB3_186:                              ;   in Loop: Header=BB3_163 Depth=1
	s_or_b64 exec, exec, s[24:25]
	s_orn2_b64 s[24:25], s[26:27], exec
.LBB3_187:                              ;   in Loop: Header=BB3_163 Depth=1
	s_or_b64 exec, exec, s[22:23]
	s_andn2_b64 s[4:5], s[4:5], exec
	s_and_b64 s[22:23], s[24:25], exec
	v_mov_b32_e32 v53, 5
	s_or_b64 s[4:5], s[4:5], s[22:23]
.LBB3_188:                              ;   in Loop: Header=BB3_163 Depth=1
	s_or_b64 exec, exec, s[20:21]
	s_and_b64 s[4:5], s[4:5], exec
.LBB3_189:                              ;   in Loop: Header=BB3_163 Depth=1
	s_andn2_saveexec_b64 s[18:19], s[18:19]
	s_cbranch_execz .LBB3_197
; %bb.190:                              ;   in Loop: Header=BB3_163 Depth=1
	s_mov_b64 s[22:23], -1
	s_and_saveexec_b64 s[20:21], s[86:87]
	s_cbranch_execz .LBB3_196
; %bb.191:                              ;   in Loop: Header=BB3_163 Depth=1
	v_mov_b32_e32 v0, v58
	s_mov_b64 s[22:23], 0
	v_mov_b32_e32 v1, v59
	v_mov_b32_e32 v2, v46
                                        ; implicit-def: $sgpr24_sgpr25
                                        ; implicit-def: $sgpr28_sgpr29
                                        ; implicit-def: $sgpr26_sgpr27
	s_branch .LBB3_193
.LBB3_192:                              ;   in Loop: Header=BB3_193 Depth=2
	s_or_b64 exec, exec, s[40:41]
	s_xor_b64 s[40:41], s[26:27], -1
	s_and_b64 s[42:43], exec, s[28:29]
	s_or_b64 s[22:23], s[42:43], s[22:23]
	s_andn2_b64 s[24:25], s[24:25], exec
	s_and_b64 s[40:41], s[40:41], exec
	s_or_b64 s[24:25], s[24:25], s[40:41]
	s_andn2_b64 exec, exec, s[22:23]
	s_cbranch_execz .LBB3_195
.LBB3_193:                              ;   Parent Loop BB3_163 Depth=1
                                        ; =>  This Inner Loop Header: Depth=2
	flat_load_dword v3, v[0:1]
	s_or_b64 s[26:27], s[26:27], exec
	s_or_b64 s[28:29], s[28:29], exec
	s_waitcnt vmcnt(0) lgkmcnt(0)
	v_lshrrev_b32_e32 v5, 8, v3
	v_xor_b32_e32 v3, v5, v3
	v_and_b32_e32 v3, 0xff00ff, v3
	v_cmp_eq_u32_e32 vcc, 0, v3
	s_and_saveexec_b64 s[40:41], vcc
	s_cbranch_execz .LBB3_192
; %bb.194:                              ;   in Loop: Header=BB3_193 Depth=2
	v_add_co_u32_e32 v0, vcc, 4, v0
	v_add_u32_e32 v2, -1, v2
	v_addc_co_u32_e32 v1, vcc, 0, v1, vcc
	v_cmp_eq_u32_e32 vcc, 0, v2
	s_andn2_b64 s[28:29], s[28:29], exec
	s_and_b64 s[42:43], vcc, exec
	s_andn2_b64 s[26:27], s[26:27], exec
	s_or_b64 s[28:29], s[28:29], s[42:43]
	s_branch .LBB3_192
.LBB3_195:                              ;   in Loop: Header=BB3_163 Depth=1
	s_or_b64 exec, exec, s[22:23]
	s_orn2_b64 s[22:23], s[24:25], exec
.LBB3_196:                              ;   in Loop: Header=BB3_163 Depth=1
	s_or_b64 exec, exec, s[20:21]
	s_andn2_b64 s[4:5], s[4:5], exec
	s_and_b64 s[20:21], s[22:23], exec
	v_mov_b32_e32 v53, 4
	s_or_b64 s[4:5], s[4:5], s[20:21]
.LBB3_197:                              ;   in Loop: Header=BB3_163 Depth=1
	s_or_b64 exec, exec, s[18:19]
	s_and_b64 s[4:5], s[4:5], exec
.LBB3_198:                              ;   in Loop: Header=BB3_163 Depth=1
	s_andn2_saveexec_b64 s[16:17], s[16:17]
	s_cbranch_execz .LBB3_206
; %bb.199:                              ;   in Loop: Header=BB3_163 Depth=1
	s_mov_b64 s[20:21], -1
	s_and_saveexec_b64 s[18:19], s[86:87]
	s_cbranch_execz .LBB3_205
; %bb.200:                              ;   in Loop: Header=BB3_163 Depth=1
	v_mov_b32_e32 v0, v58
	s_mov_b64 s[20:21], 0
	v_mov_b32_e32 v1, v59
	v_mov_b32_e32 v2, v46
                                        ; implicit-def: $sgpr22_sgpr23
                                        ; implicit-def: $sgpr26_sgpr27
                                        ; implicit-def: $sgpr24_sgpr25
	s_branch .LBB3_202
.LBB3_201:                              ;   in Loop: Header=BB3_202 Depth=2
	s_or_b64 exec, exec, s[28:29]
	s_xor_b64 s[28:29], s[24:25], -1
	s_and_b64 s[40:41], exec, s[26:27]
	s_or_b64 s[20:21], s[40:41], s[20:21]
	s_andn2_b64 s[22:23], s[22:23], exec
	s_and_b64 s[28:29], s[28:29], exec
	s_or_b64 s[22:23], s[22:23], s[28:29]
	s_andn2_b64 exec, exec, s[20:21]
	s_cbranch_execz .LBB3_204
.LBB3_202:                              ;   Parent Loop BB3_163 Depth=1
                                        ; =>  This Inner Loop Header: Depth=2
	flat_load_dword v3, v[0:1]
	s_or_b64 s[24:25], s[24:25], exec
	s_or_b64 s[26:27], s[26:27], exec
	s_waitcnt vmcnt(0) lgkmcnt(0)
	v_lshrrev_b32_e32 v5, 4, v3
	v_xor_b32_e32 v3, v5, v3
	v_and_b32_e32 v3, 0xf0f0f0f, v3
	v_cmp_eq_u32_e32 vcc, 0, v3
	s_and_saveexec_b64 s[28:29], vcc
	s_cbranch_execz .LBB3_201
; %bb.203:                              ;   in Loop: Header=BB3_202 Depth=2
	v_add_co_u32_e32 v0, vcc, 4, v0
	v_add_u32_e32 v2, -1, v2
	v_addc_co_u32_e32 v1, vcc, 0, v1, vcc
	v_cmp_eq_u32_e32 vcc, 0, v2
	s_andn2_b64 s[26:27], s[26:27], exec
	s_and_b64 s[40:41], vcc, exec
	s_andn2_b64 s[24:25], s[24:25], exec
	s_or_b64 s[26:27], s[26:27], s[40:41]
	s_branch .LBB3_201
.LBB3_204:                              ;   in Loop: Header=BB3_163 Depth=1
	s_or_b64 exec, exec, s[20:21]
	s_orn2_b64 s[20:21], s[22:23], exec
.LBB3_205:                              ;   in Loop: Header=BB3_163 Depth=1
	s_or_b64 exec, exec, s[18:19]
	s_andn2_b64 s[4:5], s[4:5], exec
	s_and_b64 s[18:19], s[20:21], exec
	v_mov_b32_e32 v53, 3
	s_or_b64 s[4:5], s[4:5], s[18:19]
.LBB3_206:                              ;   in Loop: Header=BB3_163 Depth=1
	s_or_b64 exec, exec, s[16:17]
	s_and_b64 s[4:5], s[4:5], exec
.LBB3_207:                              ;   in Loop: Header=BB3_163 Depth=1
	s_andn2_saveexec_b64 s[14:15], s[14:15]
	s_cbranch_execz .LBB3_225
; %bb.208:                              ;   in Loop: Header=BB3_163 Depth=1
	v_cmp_lt_i32_e32 vcc, 1, v4
	s_mov_b64 s[16:17], s[4:5]
	s_and_saveexec_b64 s[18:19], vcc
	s_xor_b64 s[18:19], exec, s[18:19]
	s_cbranch_execz .LBB3_216
; %bb.209:                              ;   in Loop: Header=BB3_163 Depth=1
	s_mov_b64 s[20:21], -1
	s_and_saveexec_b64 s[16:17], s[86:87]
	s_cbranch_execz .LBB3_215
; %bb.210:                              ;   in Loop: Header=BB3_163 Depth=1
	v_mov_b32_e32 v0, v58
	s_mov_b64 s[20:21], 0
	v_mov_b32_e32 v1, v59
	v_mov_b32_e32 v2, v46
                                        ; implicit-def: $sgpr22_sgpr23
                                        ; implicit-def: $sgpr26_sgpr27
                                        ; implicit-def: $sgpr24_sgpr25
	s_branch .LBB3_212
.LBB3_211:                              ;   in Loop: Header=BB3_212 Depth=2
	s_or_b64 exec, exec, s[28:29]
	s_xor_b64 s[28:29], s[24:25], -1
	s_and_b64 s[40:41], exec, s[26:27]
	s_or_b64 s[20:21], s[40:41], s[20:21]
	s_andn2_b64 s[22:23], s[22:23], exec
	s_and_b64 s[28:29], s[28:29], exec
	s_or_b64 s[22:23], s[22:23], s[28:29]
	s_andn2_b64 exec, exec, s[20:21]
	s_cbranch_execz .LBB3_214
.LBB3_212:                              ;   Parent Loop BB3_163 Depth=1
                                        ; =>  This Inner Loop Header: Depth=2
	flat_load_dword v3, v[0:1]
	s_or_b64 s[24:25], s[24:25], exec
	s_or_b64 s[26:27], s[26:27], exec
	s_waitcnt vmcnt(0) lgkmcnt(0)
	v_lshrrev_b32_e32 v5, 2, v3
	v_xor_b32_e32 v3, v5, v3
	v_and_b32_e32 v3, 0x33333333, v3
	v_cmp_eq_u32_e32 vcc, 0, v3
	s_and_saveexec_b64 s[28:29], vcc
	s_cbranch_execz .LBB3_211
; %bb.213:                              ;   in Loop: Header=BB3_212 Depth=2
	v_add_co_u32_e32 v0, vcc, 4, v0
	v_add_u32_e32 v2, -1, v2
	v_addc_co_u32_e32 v1, vcc, 0, v1, vcc
	v_cmp_eq_u32_e32 vcc, 0, v2
	s_andn2_b64 s[26:27], s[26:27], exec
	s_and_b64 s[40:41], vcc, exec
	s_andn2_b64 s[24:25], s[24:25], exec
	s_or_b64 s[26:27], s[26:27], s[40:41]
	s_branch .LBB3_211
.LBB3_214:                              ;   in Loop: Header=BB3_163 Depth=1
	s_or_b64 exec, exec, s[20:21]
	s_orn2_b64 s[20:21], s[22:23], exec
.LBB3_215:                              ;   in Loop: Header=BB3_163 Depth=1
	s_or_b64 exec, exec, s[16:17]
	s_andn2_b64 s[16:17], s[4:5], exec
	s_and_b64 s[20:21], s[20:21], exec
	s_or_b64 s[16:17], s[16:17], s[20:21]
.LBB3_216:                              ;   in Loop: Header=BB3_163 Depth=1
	s_or_saveexec_b64 s[18:19], s[18:19]
	v_mov_b32_e32 v53, 2
	s_xor_b64 exec, exec, s[18:19]
	s_cbranch_execz .LBB3_224
; %bb.217:                              ;   in Loop: Header=BB3_163 Depth=1
	s_mov_b64 s[22:23], -1
	s_and_saveexec_b64 s[20:21], s[86:87]
	s_cbranch_execz .LBB3_223
; %bb.218:                              ;   in Loop: Header=BB3_163 Depth=1
	v_mov_b32_e32 v0, v58
	s_mov_b64 s[22:23], 0
	v_mov_b32_e32 v1, v59
	v_mov_b32_e32 v2, v46
                                        ; implicit-def: $sgpr24_sgpr25
                                        ; implicit-def: $sgpr28_sgpr29
                                        ; implicit-def: $sgpr26_sgpr27
	s_branch .LBB3_220
.LBB3_219:                              ;   in Loop: Header=BB3_220 Depth=2
	s_or_b64 exec, exec, s[40:41]
	s_xor_b64 s[40:41], s[26:27], -1
	s_and_b64 s[42:43], exec, s[28:29]
	s_or_b64 s[22:23], s[42:43], s[22:23]
	s_andn2_b64 s[24:25], s[24:25], exec
	s_and_b64 s[40:41], s[40:41], exec
	s_or_b64 s[24:25], s[24:25], s[40:41]
	s_andn2_b64 exec, exec, s[22:23]
	s_cbranch_execz .LBB3_222
.LBB3_220:                              ;   Parent Loop BB3_163 Depth=1
                                        ; =>  This Inner Loop Header: Depth=2
	flat_load_dword v3, v[0:1]
	s_or_b64 s[26:27], s[26:27], exec
	s_or_b64 s[28:29], s[28:29], exec
	s_waitcnt vmcnt(0) lgkmcnt(0)
	v_lshrrev_b32_e32 v5, 1, v3
	v_xor_b32_e32 v3, v5, v3
	v_and_b32_e32 v3, 0x55555555, v3
	v_cmp_eq_u32_e32 vcc, 0, v3
	s_and_saveexec_b64 s[40:41], vcc
	s_cbranch_execz .LBB3_219
; %bb.221:                              ;   in Loop: Header=BB3_220 Depth=2
	v_add_co_u32_e32 v0, vcc, 4, v0
	v_add_u32_e32 v2, -1, v2
	v_addc_co_u32_e32 v1, vcc, 0, v1, vcc
	v_cmp_eq_u32_e32 vcc, 0, v2
	s_andn2_b64 s[28:29], s[28:29], exec
	s_and_b64 s[42:43], vcc, exec
	s_andn2_b64 s[26:27], s[26:27], exec
	s_or_b64 s[28:29], s[28:29], s[42:43]
	s_branch .LBB3_219
.LBB3_222:                              ;   in Loop: Header=BB3_163 Depth=1
	s_or_b64 exec, exec, s[22:23]
	s_orn2_b64 s[22:23], s[24:25], exec
.LBB3_223:                              ;   in Loop: Header=BB3_163 Depth=1
	s_or_b64 exec, exec, s[20:21]
	s_andn2_b64 s[16:17], s[16:17], exec
	s_and_b64 s[20:21], s[22:23], exec
	v_mov_b32_e32 v53, 1
	s_or_b64 s[16:17], s[16:17], s[20:21]
.LBB3_224:                              ;   in Loop: Header=BB3_163 Depth=1
	s_or_b64 exec, exec, s[18:19]
	s_andn2_b64 s[4:5], s[4:5], exec
	s_and_b64 s[16:17], s[16:17], exec
	s_or_b64 s[4:5], s[4:5], s[16:17]
.LBB3_225:                              ;   in Loop: Header=BB3_163 Depth=1
	s_or_b64 exec, exec, s[14:15]
	s_mov_b64 s[16:17], -1
	s_mov_b64 s[18:19], -1
	s_and_saveexec_b64 s[14:15], s[4:5]
	s_cbranch_execz .LBB3_162
; %bb.226:                              ;   in Loop: Header=BB3_163 Depth=1
	v_cmp_lt_i32_e32 vcc, 2, v4
	s_mov_b64 s[16:17], 0
	s_mov_b64 s[22:23], 0
	;; [unrolled: 1-line block ×3, first 2 shown]
                                        ; implicit-def: $vgpr53
	s_and_saveexec_b64 s[4:5], vcc
	s_xor_b64 s[4:5], exec, s[4:5]
	s_cbranch_execnz .LBB3_230
; %bb.227:                              ;   in Loop: Header=BB3_163 Depth=1
	s_andn2_saveexec_b64 s[4:5], s[4:5]
	s_cbranch_execnz .LBB3_259
.LBB3_228:                              ;   in Loop: Header=BB3_163 Depth=1
	s_or_b64 exec, exec, s[4:5]
	s_and_saveexec_b64 s[20:21], s[22:23]
	s_cbranch_execnz .LBB3_270
.LBB3_229:                              ;   in Loop: Header=BB3_163 Depth=1
	s_or_b64 exec, exec, s[20:21]
	s_and_saveexec_b64 s[4:5], s[16:17]
	s_xor_b64 s[4:5], exec, s[4:5]
	s_cbranch_execnz .LBB3_283
	s_branch .LBB3_290
.LBB3_230:                              ;   in Loop: Header=BB3_163 Depth=1
	v_cmp_lt_i32_e32 vcc, 3, v4
	s_mov_b64 s[20:21], 0
                                        ; implicit-def: $vgpr53
	s_and_saveexec_b64 s[18:19], vcc
	s_xor_b64 s[18:19], exec, s[18:19]
	s_cbranch_execz .LBB3_250
; %bb.231:                              ;   in Loop: Header=BB3_163 Depth=1
	v_cmp_lt_i32_e32 vcc, 4, v4
	s_and_saveexec_b64 s[24:25], vcc
	s_xor_b64 s[24:25], exec, s[24:25]
	s_cbranch_execz .LBB3_241
; %bb.232:                              ;   in Loop: Header=BB3_163 Depth=1
	v_cmp_eq_u32_e32 vcc, 5, v4
	s_mov_b64 s[26:27], -1
	s_and_saveexec_b64 s[20:21], vcc
	s_cbranch_execz .LBB3_240
; %bb.233:                              ;   in Loop: Header=BB3_163 Depth=1
	s_and_saveexec_b64 s[22:23], s[86:87]
	s_cbranch_execz .LBB3_239
; %bb.234:                              ;   in Loop: Header=BB3_163 Depth=1
	v_mov_b32_e32 v0, v56
	s_mov_b64 s[26:27], 0
	v_mov_b32_e32 v1, v57
	v_mov_b32_e32 v2, v46
                                        ; implicit-def: $sgpr28_sgpr29
                                        ; implicit-def: $sgpr42_sgpr43
                                        ; implicit-def: $sgpr40_sgpr41
	s_branch .LBB3_236
.LBB3_235:                              ;   in Loop: Header=BB3_236 Depth=2
	s_or_b64 exec, exec, s[44:45]
	s_xor_b64 s[44:45], s[40:41], -1
	s_and_b64 s[46:47], exec, s[42:43]
	s_or_b64 s[26:27], s[46:47], s[26:27]
	s_andn2_b64 s[28:29], s[28:29], exec
	s_and_b64 s[44:45], s[44:45], exec
	s_or_b64 s[28:29], s[28:29], s[44:45]
	s_andn2_b64 exec, exec, s[26:27]
	s_cbranch_execz .LBB3_238
.LBB3_236:                              ;   Parent Loop BB3_163 Depth=1
                                        ; =>  This Inner Loop Header: Depth=2
	flat_load_dword v3, v[0:1]
	s_or_b64 s[40:41], s[40:41], exec
	s_or_b64 s[42:43], s[42:43], exec
	s_waitcnt vmcnt(0) lgkmcnt(0)
	v_cmp_eq_u32_sdwa s[46:47], v3, v3 src0_sel:WORD_0 src1_sel:WORD_1
	s_and_saveexec_b64 s[44:45], s[46:47]
	s_cbranch_execz .LBB3_235
; %bb.237:                              ;   in Loop: Header=BB3_236 Depth=2
	v_add_co_u32_e32 v0, vcc, 4, v0
	v_add_u32_e32 v2, -1, v2
	v_addc_co_u32_e32 v1, vcc, 0, v1, vcc
	v_cmp_eq_u32_e32 vcc, 0, v2
	s_andn2_b64 s[42:43], s[42:43], exec
	s_and_b64 s[46:47], vcc, exec
	s_andn2_b64 s[40:41], s[40:41], exec
	s_or_b64 s[42:43], s[42:43], s[46:47]
	s_branch .LBB3_235
.LBB3_238:                              ;   in Loop: Header=BB3_163 Depth=1
	s_or_b64 exec, exec, s[26:27]
	s_orn2_b64 s[26:27], s[28:29], exec
.LBB3_239:                              ;   in Loop: Header=BB3_163 Depth=1
	s_or_b64 exec, exec, s[22:23]
	s_and_b64 s[22:23], s[26:27], exec
	s_xor_b64 s[26:27], exec, -1
.LBB3_240:                              ;   in Loop: Header=BB3_163 Depth=1
	s_or_b64 exec, exec, s[20:21]
	s_and_b64 s[22:23], s[22:23], exec
	s_and_b64 s[20:21], s[26:27], exec
.LBB3_241:                              ;   in Loop: Header=BB3_163 Depth=1
	s_or_saveexec_b64 s[24:25], s[24:25]
	v_mov_b32_e32 v53, 5
	s_xor_b64 exec, exec, s[24:25]
	s_cbranch_execz .LBB3_249
; %bb.242:                              ;   in Loop: Header=BB3_163 Depth=1
	s_mov_b64 s[28:29], -1
	s_and_saveexec_b64 s[26:27], s[86:87]
	s_cbranch_execz .LBB3_248
; %bb.243:                              ;   in Loop: Header=BB3_163 Depth=1
	v_mov_b32_e32 v0, v56
	s_mov_b64 s[28:29], 0
	v_mov_b32_e32 v1, v57
	v_mov_b32_e32 v2, v46
                                        ; implicit-def: $sgpr40_sgpr41
                                        ; implicit-def: $sgpr44_sgpr45
                                        ; implicit-def: $sgpr42_sgpr43
	s_branch .LBB3_245
.LBB3_244:                              ;   in Loop: Header=BB3_245 Depth=2
	s_or_b64 exec, exec, s[46:47]
	s_xor_b64 s[46:47], s[42:43], -1
	s_and_b64 s[56:57], exec, s[44:45]
	s_or_b64 s[28:29], s[56:57], s[28:29]
	s_andn2_b64 s[40:41], s[40:41], exec
	s_and_b64 s[46:47], s[46:47], exec
	s_or_b64 s[40:41], s[40:41], s[46:47]
	s_andn2_b64 exec, exec, s[28:29]
	s_cbranch_execz .LBB3_247
.LBB3_245:                              ;   Parent Loop BB3_163 Depth=1
                                        ; =>  This Inner Loop Header: Depth=2
	flat_load_dword v3, v[0:1]
	s_or_b64 s[42:43], s[42:43], exec
	s_or_b64 s[44:45], s[44:45], exec
	s_waitcnt vmcnt(0) lgkmcnt(0)
	v_lshrrev_b32_e32 v5, 8, v3
	v_xor_b32_e32 v3, v5, v3
	v_and_b32_e32 v3, 0xff00ff, v3
	v_cmp_eq_u32_e32 vcc, 0, v3
	s_and_saveexec_b64 s[46:47], vcc
	s_cbranch_execz .LBB3_244
; %bb.246:                              ;   in Loop: Header=BB3_245 Depth=2
	v_add_co_u32_e32 v0, vcc, 4, v0
	v_add_u32_e32 v2, -1, v2
	v_addc_co_u32_e32 v1, vcc, 0, v1, vcc
	v_cmp_eq_u32_e32 vcc, 0, v2
	s_andn2_b64 s[44:45], s[44:45], exec
	s_and_b64 s[56:57], vcc, exec
	s_andn2_b64 s[42:43], s[42:43], exec
	s_or_b64 s[44:45], s[44:45], s[56:57]
	s_branch .LBB3_244
.LBB3_247:                              ;   in Loop: Header=BB3_163 Depth=1
	s_or_b64 exec, exec, s[28:29]
	s_orn2_b64 s[28:29], s[40:41], exec
.LBB3_248:                              ;   in Loop: Header=BB3_163 Depth=1
	s_or_b64 exec, exec, s[26:27]
	s_andn2_b64 s[22:23], s[22:23], exec
	s_and_b64 s[26:27], s[28:29], exec
	v_mov_b32_e32 v53, 4
	s_or_b64 s[22:23], s[22:23], s[26:27]
.LBB3_249:                              ;   in Loop: Header=BB3_163 Depth=1
	s_or_b64 exec, exec, s[24:25]
	s_and_b64 s[22:23], s[22:23], exec
	s_and_b64 s[20:21], s[20:21], exec
.LBB3_250:                              ;   in Loop: Header=BB3_163 Depth=1
	s_andn2_saveexec_b64 s[18:19], s[18:19]
	s_cbranch_execz .LBB3_258
; %bb.251:                              ;   in Loop: Header=BB3_163 Depth=1
	s_mov_b64 s[26:27], -1
	s_and_saveexec_b64 s[24:25], s[86:87]
	s_cbranch_execz .LBB3_257
; %bb.252:                              ;   in Loop: Header=BB3_163 Depth=1
	v_mov_b32_e32 v0, v56
	s_mov_b64 s[26:27], 0
	v_mov_b32_e32 v1, v57
	v_mov_b32_e32 v2, v46
                                        ; implicit-def: $sgpr28_sgpr29
                                        ; implicit-def: $sgpr42_sgpr43
                                        ; implicit-def: $sgpr40_sgpr41
	s_branch .LBB3_254
.LBB3_253:                              ;   in Loop: Header=BB3_254 Depth=2
	s_or_b64 exec, exec, s[44:45]
	s_xor_b64 s[44:45], s[40:41], -1
	s_and_b64 s[46:47], exec, s[42:43]
	s_or_b64 s[26:27], s[46:47], s[26:27]
	s_andn2_b64 s[28:29], s[28:29], exec
	s_and_b64 s[44:45], s[44:45], exec
	s_or_b64 s[28:29], s[28:29], s[44:45]
	s_andn2_b64 exec, exec, s[26:27]
	s_cbranch_execz .LBB3_256
.LBB3_254:                              ;   Parent Loop BB3_163 Depth=1
                                        ; =>  This Inner Loop Header: Depth=2
	flat_load_dword v3, v[0:1]
	s_or_b64 s[40:41], s[40:41], exec
	s_or_b64 s[42:43], s[42:43], exec
	s_waitcnt vmcnt(0) lgkmcnt(0)
	v_lshrrev_b32_e32 v5, 4, v3
	v_xor_b32_e32 v3, v5, v3
	v_and_b32_e32 v3, 0xf0f0f0f, v3
	v_cmp_eq_u32_e32 vcc, 0, v3
	s_and_saveexec_b64 s[44:45], vcc
	s_cbranch_execz .LBB3_253
; %bb.255:                              ;   in Loop: Header=BB3_254 Depth=2
	v_add_co_u32_e32 v0, vcc, 4, v0
	v_add_u32_e32 v2, -1, v2
	v_addc_co_u32_e32 v1, vcc, 0, v1, vcc
	v_cmp_eq_u32_e32 vcc, 0, v2
	s_andn2_b64 s[42:43], s[42:43], exec
	s_and_b64 s[46:47], vcc, exec
	s_andn2_b64 s[40:41], s[40:41], exec
	s_or_b64 s[42:43], s[42:43], s[46:47]
	s_branch .LBB3_253
.LBB3_256:                              ;   in Loop: Header=BB3_163 Depth=1
	s_or_b64 exec, exec, s[26:27]
	s_orn2_b64 s[26:27], s[28:29], exec
.LBB3_257:                              ;   in Loop: Header=BB3_163 Depth=1
	s_or_b64 exec, exec, s[24:25]
	s_andn2_b64 s[22:23], s[22:23], exec
	s_and_b64 s[24:25], s[26:27], exec
	v_mov_b32_e32 v53, 3
	s_or_b64 s[22:23], s[22:23], s[24:25]
.LBB3_258:                              ;   in Loop: Header=BB3_163 Depth=1
	s_or_b64 exec, exec, s[18:19]
	s_and_b64 s[18:19], s[22:23], exec
	s_and_b64 s[22:23], s[20:21], exec
	s_andn2_saveexec_b64 s[4:5], s[4:5]
	s_cbranch_execz .LBB3_228
.LBB3_259:                              ;   in Loop: Header=BB3_163 Depth=1
	v_cmp_lt_i32_e32 vcc, 1, v4
	s_mov_b64 s[20:21], s[18:19]
	s_and_saveexec_b64 s[16:17], vcc
	s_xor_b64 s[16:17], exec, s[16:17]
	s_cbranch_execz .LBB3_267
; %bb.260:                              ;   in Loop: Header=BB3_163 Depth=1
	s_mov_b64 s[24:25], -1
	s_and_saveexec_b64 s[20:21], s[86:87]
	s_cbranch_execz .LBB3_266
; %bb.261:                              ;   in Loop: Header=BB3_163 Depth=1
	v_mov_b32_e32 v0, v56
	s_mov_b64 s[24:25], 0
	v_mov_b32_e32 v1, v57
	v_mov_b32_e32 v2, v46
                                        ; implicit-def: $sgpr26_sgpr27
                                        ; implicit-def: $sgpr40_sgpr41
                                        ; implicit-def: $sgpr28_sgpr29
	s_branch .LBB3_263
.LBB3_262:                              ;   in Loop: Header=BB3_263 Depth=2
	s_or_b64 exec, exec, s[42:43]
	s_xor_b64 s[42:43], s[28:29], -1
	s_and_b64 s[44:45], exec, s[40:41]
	s_or_b64 s[24:25], s[44:45], s[24:25]
	s_andn2_b64 s[26:27], s[26:27], exec
	s_and_b64 s[42:43], s[42:43], exec
	s_or_b64 s[26:27], s[26:27], s[42:43]
	s_andn2_b64 exec, exec, s[24:25]
	s_cbranch_execz .LBB3_265
.LBB3_263:                              ;   Parent Loop BB3_163 Depth=1
                                        ; =>  This Inner Loop Header: Depth=2
	flat_load_dword v3, v[0:1]
	s_or_b64 s[28:29], s[28:29], exec
	s_or_b64 s[40:41], s[40:41], exec
	s_waitcnt vmcnt(0) lgkmcnt(0)
	v_lshrrev_b32_e32 v5, 2, v3
	v_xor_b32_e32 v3, v5, v3
	v_and_b32_e32 v3, 0x33333333, v3
	v_cmp_eq_u32_e32 vcc, 0, v3
	s_and_saveexec_b64 s[42:43], vcc
	s_cbranch_execz .LBB3_262
; %bb.264:                              ;   in Loop: Header=BB3_263 Depth=2
	v_add_co_u32_e32 v0, vcc, 4, v0
	v_add_u32_e32 v2, -1, v2
	v_addc_co_u32_e32 v1, vcc, 0, v1, vcc
	v_cmp_eq_u32_e32 vcc, 0, v2
	s_andn2_b64 s[40:41], s[40:41], exec
	s_and_b64 s[44:45], vcc, exec
	s_andn2_b64 s[28:29], s[28:29], exec
	s_or_b64 s[40:41], s[40:41], s[44:45]
	s_branch .LBB3_262
.LBB3_265:                              ;   in Loop: Header=BB3_163 Depth=1
	s_or_b64 exec, exec, s[24:25]
	s_orn2_b64 s[24:25], s[26:27], exec
.LBB3_266:                              ;   in Loop: Header=BB3_163 Depth=1
	s_or_b64 exec, exec, s[20:21]
	s_andn2_b64 s[20:21], s[18:19], exec
	s_and_b64 s[24:25], s[24:25], exec
	s_or_b64 s[20:21], s[20:21], s[24:25]
.LBB3_267:                              ;   in Loop: Header=BB3_163 Depth=1
	s_or_saveexec_b64 s[24:25], s[16:17]
	s_mov_b64 s[16:17], 0
	s_mov_b64 s[26:27], s[22:23]
	s_xor_b64 exec, exec, s[24:25]
; %bb.268:                              ;   in Loop: Header=BB3_163 Depth=1
	v_cmp_ne_u32_e32 vcc, 1, v4
	s_andn2_b64 s[26:27], s[22:23], exec
	s_and_b64 s[28:29], vcc, exec
	s_mov_b64 s[16:17], exec
	s_or_b64 s[26:27], s[26:27], s[28:29]
; %bb.269:                              ;   in Loop: Header=BB3_163 Depth=1
	s_or_b64 exec, exec, s[24:25]
	s_andn2_b64 s[18:19], s[18:19], exec
	s_and_b64 s[20:21], s[20:21], exec
	s_or_b64 s[18:19], s[18:19], s[20:21]
	s_andn2_b64 s[20:21], s[22:23], exec
	s_and_b64 s[22:23], s[26:27], exec
	v_mov_b32_e32 v53, 2
	s_and_b64 s[16:17], s[16:17], exec
	s_or_b64 s[22:23], s[20:21], s[22:23]
	s_or_b64 exec, exec, s[4:5]
	s_and_saveexec_b64 s[20:21], s[22:23]
	s_cbranch_execz .LBB3_229
.LBB3_270:                              ;   in Loop: Header=BB3_163 Depth=1
	s_mov_b64 s[4:5], -1
	s_and_saveexec_b64 s[22:23], s[86:87]
	s_cbranch_execz .LBB3_282
; %bb.271:                              ;   in Loop: Header=BB3_163 Depth=1
	v_add_u32_e32 v0, -6, v4
	v_lshlrev_b32_e64 v2, v0, 1
	v_cmp_ne_u32_e32 vcc, 31, v0
	v_lshlrev_b32_e64 v0, v0, 2
	v_ashrrev_i32_e32 v1, 31, v0
	v_ashrrev_i32_e32 v3, 31, v2
	v_max_i32_e32 v11, 1, v2
	v_lshlrev_b64 v[2:3], 2, v[2:3]
	v_lshlrev_b64 v[5:6], 2, v[0:1]
	v_mov_b32_e32 v7, v56
	v_mov_b32_e32 v1, 0
	s_mov_b64 s[24:25], 0
	v_mov_b32_e32 v8, v57
                                        ; implicit-def: $sgpr26_sgpr27
	s_branch .LBB3_273
.LBB3_272:                              ;   in Loop: Header=BB3_273 Depth=2
	s_or_b64 exec, exec, s[42:43]
	s_xor_b64 s[4:5], s[40:41], -1
	s_and_b64 s[28:29], exec, s[28:29]
	s_or_b64 s[24:25], s[28:29], s[24:25]
	s_andn2_b64 s[26:27], s[26:27], exec
	s_and_b64 s[4:5], s[4:5], exec
	s_or_b64 s[26:27], s[26:27], s[4:5]
	s_andn2_b64 exec, exec, s[24:25]
	s_cbranch_execz .LBB3_281
.LBB3_273:                              ;   Parent Loop BB3_163 Depth=1
                                        ; =>  This Loop Header: Depth=2
                                        ;       Child Loop BB3_276 Depth 3
	s_mov_b64 s[28:29], -1
	s_mov_b64 s[4:5], -1
	s_and_saveexec_b64 s[40:41], vcc
	s_cbranch_execz .LBB3_279
; %bb.274:                              ;   in Loop: Header=BB3_273 Depth=2
	v_mov_b32_e32 v10, v8
	s_mov_b64 s[42:43], 0
	v_mov_b32_e32 v9, v7
	v_mov_b32_e32 v12, v11
                                        ; implicit-def: $sgpr44_sgpr45
                                        ; implicit-def: $sgpr56_sgpr57
                                        ; implicit-def: $sgpr46_sgpr47
	s_branch .LBB3_276
.LBB3_275:                              ;   in Loop: Header=BB3_276 Depth=3
	s_or_b64 exec, exec, s[58:59]
	s_xor_b64 s[4:5], s[46:47], -1
	s_and_b64 s[58:59], exec, s[56:57]
	s_or_b64 s[42:43], s[58:59], s[42:43]
	s_andn2_b64 s[44:45], s[44:45], exec
	s_and_b64 s[4:5], s[4:5], exec
	s_or_b64 s[44:45], s[44:45], s[4:5]
	s_andn2_b64 exec, exec, s[42:43]
	s_cbranch_execz .LBB3_278
.LBB3_276:                              ;   Parent Loop BB3_163 Depth=1
                                        ;     Parent Loop BB3_273 Depth=2
                                        ; =>    This Inner Loop Header: Depth=3
	v_add_co_u32_e64 v13, s[4:5], v9, v2
	v_addc_co_u32_e64 v14, s[4:5], v10, v3, s[4:5]
	flat_load_dword v15, v[9:10]
	s_nop 0
	flat_load_dword v13, v[13:14]
	s_or_b64 s[46:47], s[46:47], exec
	s_or_b64 s[56:57], s[56:57], exec
	s_waitcnt vmcnt(0) lgkmcnt(0)
	v_cmp_eq_u32_e64 s[4:5], v15, v13
	s_and_saveexec_b64 s[58:59], s[4:5]
	s_cbranch_execz .LBB3_275
; %bb.277:                              ;   in Loop: Header=BB3_276 Depth=3
	v_add_co_u32_e64 v9, s[4:5], 4, v9
	v_add_u32_e32 v12, -1, v12
	v_addc_co_u32_e64 v10, s[4:5], 0, v10, s[4:5]
	v_cmp_eq_u32_e64 s[4:5], 0, v12
	s_andn2_b64 s[56:57], s[56:57], exec
	s_and_b64 s[4:5], s[4:5], exec
	s_andn2_b64 s[46:47], s[46:47], exec
	s_or_b64 s[56:57], s[56:57], s[4:5]
	s_branch .LBB3_275
.LBB3_278:                              ;   in Loop: Header=BB3_273 Depth=2
	s_or_b64 exec, exec, s[42:43]
	s_orn2_b64 s[4:5], s[44:45], exec
.LBB3_279:                              ;   in Loop: Header=BB3_273 Depth=2
	s_or_b64 exec, exec, s[40:41]
	s_mov_b64 s[40:41], -1
	s_and_saveexec_b64 s[42:43], s[4:5]
	s_cbranch_execz .LBB3_272
; %bb.280:                              ;   in Loop: Header=BB3_273 Depth=2
	v_add_co_u32_e64 v7, s[4:5], v7, v5
	v_add_u32_e32 v1, v1, v0
	v_addc_co_u32_e64 v8, s[4:5], v8, v6, s[4:5]
	v_cmp_ge_i32_e64 s[4:5], v1, v46
	s_xor_b64 s[40:41], exec, -1
	s_orn2_b64 s[28:29], s[4:5], exec
	s_branch .LBB3_272
.LBB3_281:                              ;   in Loop: Header=BB3_163 Depth=1
	s_or_b64 exec, exec, s[24:25]
	s_orn2_b64 s[4:5], s[26:27], exec
.LBB3_282:                              ;   in Loop: Header=BB3_163 Depth=1
	s_or_b64 exec, exec, s[22:23]
	s_andn2_b64 s[18:19], s[18:19], exec
	s_and_b64 s[4:5], s[4:5], exec
	s_or_b64 s[18:19], s[18:19], s[4:5]
	s_andn2_b64 s[16:17], s[16:17], exec
	v_mov_b32_e32 v53, v4
	s_or_b64 exec, exec, s[20:21]
	s_and_saveexec_b64 s[4:5], s[16:17]
	s_xor_b64 s[4:5], exec, s[4:5]
	s_cbranch_execz .LBB3_290
.LBB3_283:                              ;   in Loop: Header=BB3_163 Depth=1
	s_mov_b64 s[20:21], -1
	s_and_saveexec_b64 s[16:17], s[86:87]
	s_cbranch_execz .LBB3_289
; %bb.284:                              ;   in Loop: Header=BB3_163 Depth=1
	v_mov_b32_e32 v0, v56
	s_mov_b64 s[20:21], 0
	v_mov_b32_e32 v1, v57
	v_mov_b32_e32 v2, v46
                                        ; implicit-def: $sgpr22_sgpr23
                                        ; implicit-def: $sgpr26_sgpr27
                                        ; implicit-def: $sgpr24_sgpr25
	s_branch .LBB3_286
.LBB3_285:                              ;   in Loop: Header=BB3_286 Depth=2
	s_or_b64 exec, exec, s[28:29]
	s_xor_b64 s[28:29], s[24:25], -1
	s_and_b64 s[40:41], exec, s[26:27]
	s_or_b64 s[20:21], s[40:41], s[20:21]
	s_andn2_b64 s[22:23], s[22:23], exec
	s_and_b64 s[28:29], s[28:29], exec
	s_or_b64 s[22:23], s[22:23], s[28:29]
	s_andn2_b64 exec, exec, s[20:21]
	s_cbranch_execz .LBB3_288
.LBB3_286:                              ;   Parent Loop BB3_163 Depth=1
                                        ; =>  This Inner Loop Header: Depth=2
	flat_load_dword v3, v[0:1]
	s_or_b64 s[24:25], s[24:25], exec
	s_or_b64 s[26:27], s[26:27], exec
	s_waitcnt vmcnt(0) lgkmcnt(0)
	v_lshrrev_b32_e32 v5, 1, v3
	v_xor_b32_e32 v3, v5, v3
	v_and_b32_e32 v3, 0x55555555, v3
	v_cmp_eq_u32_e32 vcc, 0, v3
	s_and_saveexec_b64 s[28:29], vcc
	s_cbranch_execz .LBB3_285
; %bb.287:                              ;   in Loop: Header=BB3_286 Depth=2
	v_add_co_u32_e32 v0, vcc, 4, v0
	v_add_u32_e32 v2, -1, v2
	v_addc_co_u32_e32 v1, vcc, 0, v1, vcc
	v_cmp_eq_u32_e32 vcc, 0, v2
	s_andn2_b64 s[26:27], s[26:27], exec
	s_and_b64 s[40:41], vcc, exec
	s_andn2_b64 s[24:25], s[24:25], exec
	s_or_b64 s[26:27], s[26:27], s[40:41]
	s_branch .LBB3_285
.LBB3_288:                              ;   in Loop: Header=BB3_163 Depth=1
	s_or_b64 exec, exec, s[20:21]
	s_orn2_b64 s[20:21], s[22:23], exec
.LBB3_289:                              ;   in Loop: Header=BB3_163 Depth=1
	s_or_b64 exec, exec, s[16:17]
	s_andn2_b64 s[16:17], s[18:19], exec
	s_and_b64 s[18:19], s[20:21], exec
	v_mov_b32_e32 v53, 1
	s_or_b64 s[18:19], s[16:17], s[18:19]
.LBB3_290:                              ;   in Loop: Header=BB3_163 Depth=1
	s_or_b64 exec, exec, s[4:5]
	s_mov_b64 s[4:5], -1
	s_mov_b64 s[16:17], -1
	s_and_saveexec_b64 s[20:21], s[18:19]
	s_cbranch_execz .LBB3_161
; %bb.291:                              ;   in Loop: Header=BB3_163 Depth=1
	v_cmp_gt_i32_e32 vcc, 2, v4
	s_xor_b64 s[16:17], exec, -1
	s_orn2_b64 s[4:5], vcc, exec
	s_branch .LBB3_161
.LBB3_292:
	s_or_b64 exec, exec, s[10:11]
	s_mov_b64 s[28:29], exec
	s_orn2_b64 s[4:5], s[12:13], exec
.LBB3_293:
	s_or_b64 exec, exec, s[6:7]
	s_mov_b64 s[96:97], s[68:69]
	s_and_saveexec_b64 s[40:41], s[4:5]
	s_cbranch_execz .LBB3_295
; %bb.294:
	s_getpc_b64 s[4:5]
	s_add_u32 s4, s4, .str.21@rel32@lo+4
	s_addc_u32 s5, s5, .str.21@rel32@hi+12
	s_getpc_b64 s[6:7]
	s_add_u32 s6, s6, .str.16@rel32@lo+4
	s_addc_u32 s7, s7, .str.16@rel32@hi+12
	s_getpc_b64 s[10:11]
	s_add_u32 s10, s10, __PRETTY_FUNCTION__._ZN3sop13minatoIsopRecEPKjS1_iPNS_3SopEP7VecsMemIjLi8192EE@rel32@lo+4
	s_addc_u32 s11, s11, __PRETTY_FUNCTION__._ZN3sop13minatoIsopRecEPKjS1_iPNS_3SopEP7VecsMemIjLi8192EE@rel32@hi+12
	s_getpc_b64 s[12:13]
	s_add_u32 s12, s12, __assert_fail@rel32@lo+4
	s_addc_u32 s13, s13, __assert_fail@rel32@hi+12
	v_mov_b32_e32 v0, s4
	v_mov_b32_e32 v1, s5
	v_mov_b32_e32 v2, s6
	v_mov_b32_e32 v3, s7
	v_mov_b32_e32 v54, v4
	v_mov_b32_e32 v4, 0x76
	v_mov_b32_e32 v5, s10
	v_mov_b32_e32 v6, s11
	s_mov_b64 s[26:27], s[8:9]
	s_swappc_b64 s[30:31], s[12:13]
	v_mov_b32_e32 v4, v54
	s_mov_b64 s[8:9], s[26:27]
	s_or_b64 s[96:97], s[68:69], exec
	s_andn2_b64 s[28:29], s[28:29], exec
.LBB3_295:
	s_or_b64 exec, exec, s[40:41]
	s_mov_b64 s[4:5], 0
	s_mov_b64 s[6:7], exec
	v_writelane_b32 v62, s6, 4
	v_writelane_b32 v62, s7, 5
	s_and_b64 s[6:7], s[6:7], s[28:29]
	s_mov_b64 exec, s[6:7]
	s_cbranch_execz .LBB3_504
; %bb.296:
	v_writelane_b32 v62, s96, 2
	v_cmp_lt_i32_e32 vcc, 5, v53
	s_mov_b64 s[84:85], 0
	v_writelane_b32 v62, s97, 3
	s_and_saveexec_b64 s[4:5], vcc
	s_xor_b64 s[38:39], exec, s[4:5]
	s_cbranch_execz .LBB3_498
; %bb.297:
	v_add_u32_e32 v0, -6, v53
	v_lshlrev_b32_e64 v2, v0, 1
	v_mov_b32_e32 v1, v2
	v_ashrrev_i32_e32 v3, 31, v2
	buffer_store_dword v1, off, s[0:3], s33 offset:112 ; 4-byte Folded Spill
	s_nop 0
	buffer_store_dword v2, off, s[0:3], s33 offset:116 ; 4-byte Folded Spill
	v_cmp_ne_u32_e64 s[36:37], 31, v0
	buffer_store_dword v0, off, s[0:3], s33 offset:132 ; 4-byte Folded Spill
	v_lshlrev_b64 v[10:11], 2, v[2:3]
	s_and_saveexec_b64 s[4:5], s[36:37]
	s_cbranch_execz .LBB3_300
; %bb.298:
	buffer_load_dword v0, off, s[0:3], s33 offset:112 ; 4-byte Folded Reload
	buffer_load_dword v1, off, s[0:3], s33 offset:116 ; 4-byte Folded Reload
	s_waitcnt vmcnt(0)
	v_mov_b32_e32 v1, 0
	s_mov_b64 s[6:7], 0
	v_add_u32_e32 v7, 1, v0
	v_add_u32_e32 v0, -1, v0
	v_lshlrev_b64 v[5:6], 2, v[0:1]
	v_add_co_u32_e32 v0, vcc, v41, v5
	v_addc_co_u32_e32 v1, vcc, v42, v6, vcc
	v_add_co_u32_e32 v2, vcc, v10, v5
	v_addc_co_u32_e32 v3, vcc, v11, v6, vcc
	;; [unrolled: 2-line block ×4, first 2 shown]
.LBB3_299:                              ; =>This Inner Loop Header: Depth=1
	flat_load_dword v8, v[5:6]
	flat_load_dword v9, v[2:3]
	v_add_co_u32_e32 v2, vcc, -4, v2
	v_addc_co_u32_e32 v3, vcc, -1, v3, vcc
	v_add_co_u32_e32 v5, vcc, -4, v5
	v_add_u32_e32 v7, -1, v7
	v_addc_co_u32_e32 v6, vcc, -1, v6, vcc
	v_cmp_gt_u32_e32 vcc, 2, v7
	s_or_b64 s[6:7], vcc, s[6:7]
	s_waitcnt vmcnt(0) lgkmcnt(0)
	v_bfi_b32 v8, v9, 0, v8
	flat_store_dword v[0:1], v8
	v_add_co_u32_e32 v0, vcc, -4, v0
	v_addc_co_u32_e32 v1, vcc, -1, v1, vcc
	s_andn2_b64 exec, exec, s[6:7]
	s_cbranch_execnz .LBB3_299
.LBB3_300:
	s_or_b64 exec, exec, s[4:5]
	s_mov_b64 s[4:5], src_private_base
	v_lshrrev_b32_e64 v5, 6, s33
	v_readlane_b32 s52, v62, 2
	s_getpc_b64 s[6:7]
	s_add_u32 s6, s6, _ZN3sop13minatoIsopRecEPKjS1_iPNS_3SopEP7VecsMemIjLi8192EE@rel32@lo+4
	s_addc_u32 s7, s7, _ZN3sop13minatoIsopRecEPKjS1_iPNS_3SopEP7VecsMemIjLi8192EE@rel32@hi+12
	v_mov_b32_e32 v0, v41
	v_mov_b32_e32 v1, v42
	;; [unrolled: 1-line block ×4, first 2 shown]
	v_add_u32_e32 v5, 56, v5
	v_mov_b32_e32 v6, s5
	v_mov_b32_e32 v7, v43
	v_mov_b32_e32 v8, v44
	v_readlane_b32 s53, v62, 3
	buffer_store_dword v10, off, s[0:3], s33 offset:104 ; 4-byte Folded Spill
	s_nop 0
	buffer_store_dword v11, off, s[0:3], s33 offset:108 ; 4-byte Folded Spill
	s_mov_b64 s[34:35], s[8:9]
	v_mov_b32_e32 v47, v4
	s_swappc_b64 s[30:31], s[6:7]
	buffer_store_dword v0, off, s[0:3], s33 offset:124 ; 4-byte Folded Spill
	buffer_store_dword v1, off, s[0:3], s33 offset:128 ; 4-byte Folded Spill
	s_mov_b64 s[4:5], exec
	buffer_load_dword v9, off, s[0:3], s33 offset:104 ; 4-byte Folded Reload
	buffer_load_dword v10, off, s[0:3], s33 offset:108 ; 4-byte Folded Reload
	s_and_b64 s[6:7], s[4:5], s[36:37]
	s_mov_b64 exec, s[6:7]
	s_cbranch_execz .LBB3_303
; %bb.301:
	buffer_load_dword v0, off, s[0:3], s33 offset:112 ; 4-byte Folded Reload
	buffer_load_dword v1, off, s[0:3], s33 offset:116 ; 4-byte Folded Reload
	s_waitcnt vmcnt(0)
	v_mov_b32_e32 v1, 0
	s_mov_b64 s[6:7], 0
	v_add_u32_e32 v6, 1, v0
	v_add_u32_e32 v0, -1, v0
	v_lshlrev_b64 v[2:3], 2, v[0:1]
	v_add_co_u32_e32 v4, vcc, v9, v2
	v_addc_co_u32_e32 v5, vcc, v10, v3, vcc
	v_add_co_u32_e32 v0, vcc, v41, v4
	v_addc_co_u32_e32 v1, vcc, v42, v5, vcc
	;; [unrolled: 2-line block ×4, first 2 shown]
.LBB3_302:                              ; =>This Inner Loop Header: Depth=1
	flat_load_dword v7, v[4:5]
	flat_load_dword v8, v[2:3]
	v_add_co_u32_e32 v2, vcc, -4, v2
	v_addc_co_u32_e32 v3, vcc, -1, v3, vcc
	v_add_co_u32_e32 v4, vcc, -4, v4
	v_add_u32_e32 v6, -1, v6
	v_addc_co_u32_e32 v5, vcc, -1, v5, vcc
	v_cmp_gt_u32_e32 vcc, 2, v6
	s_or_b64 s[6:7], vcc, s[6:7]
	s_waitcnt vmcnt(0) lgkmcnt(0)
	v_bfi_b32 v7, v8, 0, v7
	flat_store_dword v[0:1], v7
	v_add_co_u32_e32 v0, vcc, -4, v0
	v_addc_co_u32_e32 v1, vcc, -1, v1, vcc
	s_andn2_b64 exec, exec, s[6:7]
	s_cbranch_execnz .LBB3_302
.LBB3_303:
	s_or_b64 exec, exec, s[4:5]
	s_waitcnt vmcnt(0)
	v_add_co_u32_e32 v2, vcc, v56, v9
	v_addc_co_u32_e32 v3, vcc, v57, v10, vcc
	v_add_co_u32_e32 v40, vcc, v41, v9
	s_mov_b64 s[4:5], src_private_base
	v_addc_co_u32_e32 v45, vcc, v42, v10, vcc
	v_lshrrev_b32_e64 v5, 6, s33
	s_getpc_b64 s[6:7]
	s_add_u32 s6, s6, _ZN3sop13minatoIsopRecEPKjS1_iPNS_3SopEP7VecsMemIjLi8192EE@rel32@lo+4
	s_addc_u32 s7, s7, _ZN3sop13minatoIsopRecEPKjS1_iPNS_3SopEP7VecsMemIjLi8192EE@rel32@hi+12
	s_mov_b64 s[8:9], s[34:35]
	v_mov_b32_e32 v0, v40
	v_mov_b32_e32 v1, v45
	;; [unrolled: 1-line block ×3, first 2 shown]
	v_add_u32_e32 v5, 0x48, v5
	v_mov_b32_e32 v6, s5
	v_mov_b32_e32 v7, v43
	;; [unrolled: 1-line block ×3, first 2 shown]
	s_swappc_b64 s[30:31], s[6:7]
	buffer_load_dword v16, off, s[0:3], s33 offset:104 ; 4-byte Folded Reload
	buffer_load_dword v17, off, s[0:3], s33 offset:108 ; 4-byte Folded Reload
	v_mov_b32_e32 v18, v0
	buffer_store_dword v1, off, s[0:3], s33 offset:120 ; 4-byte Folded Spill
	s_and_saveexec_b64 s[4:5], s[36:37]
	s_cbranch_execz .LBB3_312
; %bb.304:
	buffer_load_dword v0, off, s[0:3], s33 offset:112 ; 4-byte Folded Reload
	buffer_load_dword v1, off, s[0:3], s33 offset:116 ; 4-byte Folded Reload
	;; [unrolled: 1-line block ×4, first 2 shown]
	s_waitcnt vmcnt(2)
	v_mov_b32_e32 v1, 0
	s_mov_b64 s[6:7], 0
	v_add_u32_e32 v12, 1, v0
	v_add_u32_e32 v0, -1, v0
	v_lshlrev_b64 v[0:1], 2, v[0:1]
	v_mov_b32_e32 v10, v12
	v_add_co_u32_e32 v2, vcc, v41, v0
	v_addc_co_u32_e32 v3, vcc, v42, v1, vcc
	s_waitcnt vmcnt(1)
	v_add_co_u32_e32 v4, vcc, v4, v0
	s_waitcnt vmcnt(0)
	v_addc_co_u32_e32 v5, vcc, v5, v1, vcc
	v_add_co_u32_e32 v6, vcc, v58, v0
	v_mov_b32_e32 v9, v3
	v_addc_co_u32_e32 v7, vcc, v59, v1, vcc
	v_mov_b32_e32 v8, v2
.LBB3_305:                              ; =>This Inner Loop Header: Depth=1
	flat_load_dword v11, v[6:7]
	flat_load_dword v13, v[4:5]
	v_add_co_u32_e32 v4, vcc, -4, v4
	v_addc_co_u32_e32 v5, vcc, -1, v5, vcc
	v_add_co_u32_e32 v6, vcc, -4, v6
	v_add_u32_e32 v10, -1, v10
	v_addc_co_u32_e32 v7, vcc, -1, v7, vcc
	v_cmp_gt_u32_e32 vcc, 2, v10
	s_or_b64 s[6:7], vcc, s[6:7]
	s_waitcnt vmcnt(0) lgkmcnt(0)
	v_bfi_b32 v11, v13, 0, v11
	flat_store_dword v[8:9], v11
	v_add_co_u32_e32 v8, vcc, -4, v8
	v_addc_co_u32_e32 v9, vcc, -1, v9, vcc
	s_andn2_b64 exec, exec, s[6:7]
	s_cbranch_execnz .LBB3_305
; %bb.306:
	s_or_b64 exec, exec, s[6:7]
	buffer_load_dword v7, off, s[0:3], s33 offset:120 ; 4-byte Folded Reload
	v_add_co_u32_e32 v8, vcc, v16, v0
	v_addc_co_u32_e32 v9, vcc, v17, v1, vcc
	v_add_co_u32_e32 v4, vcc, v41, v8
	v_addc_co_u32_e32 v5, vcc, v42, v9, vcc
	v_add_co_u32_e32 v6, vcc, v18, v0
	v_mov_b32_e32 v11, v5
	s_mov_b64 s[6:7], 0
	v_mov_b32_e32 v10, v4
	v_mov_b32_e32 v13, v12
	s_waitcnt vmcnt(0)
	v_addc_co_u32_e32 v7, vcc, v7, v1, vcc
	v_add_co_u32_e32 v8, vcc, v58, v8
	v_addc_co_u32_e32 v9, vcc, v59, v9, vcc
.LBB3_307:                              ; =>This Inner Loop Header: Depth=1
	flat_load_dword v14, v[8:9]
	flat_load_dword v15, v[6:7]
	v_add_co_u32_e32 v6, vcc, -4, v6
	v_addc_co_u32_e32 v7, vcc, -1, v7, vcc
	v_add_co_u32_e32 v8, vcc, -4, v8
	v_add_u32_e32 v13, -1, v13
	v_addc_co_u32_e32 v9, vcc, -1, v9, vcc
	v_cmp_gt_u32_e32 vcc, 2, v13
	s_or_b64 s[6:7], vcc, s[6:7]
	s_waitcnt vmcnt(0) lgkmcnt(0)
	v_bfi_b32 v14, v15, 0, v14
	flat_store_dword v[10:11], v14
	v_add_co_u32_e32 v10, vcc, -4, v10
	v_addc_co_u32_e32 v11, vcc, -1, v11, vcc
	s_andn2_b64 exec, exec, s[6:7]
	s_cbranch_execnz .LBB3_307
; %bb.308:
	s_or_b64 exec, exec, s[6:7]
	s_mov_b64 s[6:7], 0
	v_mov_b32_e32 v6, v12
.LBB3_309:                              ; =>This Inner Loop Header: Depth=1
	v_add_co_u32_e32 v7, vcc, v2, v16
	v_addc_co_u32_e32 v8, vcc, v3, v17, vcc
	flat_load_dword v9, v[2:3]
	flat_load_dword v10, v[7:8]
	v_add_u32_e32 v6, -1, v6
	v_cmp_gt_u32_e32 vcc, 2, v6
	s_or_b64 s[6:7], vcc, s[6:7]
	s_waitcnt vmcnt(0) lgkmcnt(0)
	v_or_b32_e32 v7, v10, v9
	flat_store_dword v[2:3], v7
	v_add_co_u32_e32 v2, vcc, -4, v2
	v_addc_co_u32_e32 v3, vcc, -1, v3, vcc
	s_andn2_b64 exec, exec, s[6:7]
	s_cbranch_execnz .LBB3_309
; %bb.310:
	s_or_b64 exec, exec, s[6:7]
	v_add_co_u32_e32 v0, vcc, v56, v0
	v_addc_co_u32_e32 v1, vcc, v57, v1, vcc
	s_mov_b64 s[6:7], 0
.LBB3_311:                              ; =>This Inner Loop Header: Depth=1
	v_add_co_u32_e32 v2, vcc, v0, v16
	v_addc_co_u32_e32 v3, vcc, v1, v17, vcc
	flat_load_dword v6, v[0:1]
	flat_load_dword v7, v[2:3]
	v_add_co_u32_e32 v0, vcc, -4, v0
	v_add_u32_e32 v12, -1, v12
	v_addc_co_u32_e32 v1, vcc, -1, v1, vcc
	v_cmp_gt_u32_e32 vcc, 2, v12
	s_or_b64 s[6:7], vcc, s[6:7]
	s_waitcnt vmcnt(0) lgkmcnt(0)
	v_and_b32_e32 v2, v7, v6
	flat_store_dword v[4:5], v2
	v_add_co_u32_e32 v4, vcc, -4, v4
	v_addc_co_u32_e32 v5, vcc, -1, v5, vcc
	s_andn2_b64 exec, exec, s[6:7]
	s_cbranch_execnz .LBB3_311
.LBB3_312:
	s_or_b64 exec, exec, s[4:5]
	s_mov_b64 s[4:5], src_private_base
	v_lshrrev_b32_e64 v5, 6, s33
	s_getpc_b64 s[6:7]
	s_add_u32 s6, s6, _ZN3sop13minatoIsopRecEPKjS1_iPNS_3SopEP7VecsMemIjLi8192EE@rel32@lo+4
	s_addc_u32 s7, s7, _ZN3sop13minatoIsopRecEPKjS1_iPNS_3SopEP7VecsMemIjLi8192EE@rel32@hi+12
	s_mov_b64 s[8:9], s[34:35]
	v_mov_b32_e32 v0, v41
	v_mov_b32_e32 v1, v42
	;; [unrolled: 1-line block ×5, first 2 shown]
	v_add_u32_e32 v5, 0x58, v5
	v_mov_b32_e32 v6, s5
	v_mov_b32_e32 v7, v43
	;; [unrolled: 1-line block ×4, first 2 shown]
	s_swappc_b64 s[30:31], s[6:7]
	buffer_load_dword v2, off, s[0:3], s33 offset:56
	buffer_load_dword v56, off, s[0:3], s33 offset:60
	;; [unrolled: 1-line block ×6, first 2 shown]
	v_mov_b32_e32 v53, 0
	s_mov_b64 s[4:5], -1
	v_mov_b32_e32 v54, 0
	s_mov_b64 s[40:41], s[52:53]
	s_waitcnt vmcnt(3)
	v_add_u32_e32 v3, v45, v56
	v_add_u32_e32 v2, v3, v2
	s_waitcnt vmcnt(1)
	v_add_u32_e32 v3, v3, v55
	s_waitcnt vmcnt(0)
	v_add3_u32 v2, v2, v4, v5
	v_cmp_lt_i32_e32 vcc, 0, v3
	flat_store_dwordx2 v[60:61], v[2:3]
	s_and_saveexec_b64 s[26:27], vcc
	s_cbranch_execz .LBB3_464
; %bb.313:
	flat_load_dword v2, v[43:44]
	s_movk_i32 s4, 0x2001
	v_mov_b32_e32 v53, 0
	v_mov_b32_e32 v54, 0
	s_mov_b64 s[28:29], 0
	s_waitcnt vmcnt(0) lgkmcnt(0)
	v_add_u32_e32 v4, v2, v3
	v_cmp_gt_i32_e32 vcc, s4, v4
	s_and_saveexec_b64 s[4:5], vcc
	s_xor_b64 s[4:5], exec, s[4:5]
	s_cbranch_execz .LBB3_315
; %bb.314:
	v_ashrrev_i32_e32 v5, 31, v4
	flat_store_dword v[43:44], v4
	v_lshlrev_b64 v[4:5], 2, v[4:5]
	s_mov_b64 s[28:29], exec
	v_add_co_u32_e32 v6, vcc, v43, v4
	v_mov_b32_e32 v4, 0
	v_lshlrev_b64 v[2:3], 2, v[3:4]
	v_addc_co_u32_e32 v5, vcc, v44, v5, vcc
	v_sub_co_u32_e32 v2, vcc, v6, v2
	v_subb_co_u32_e32 v3, vcc, v5, v3, vcc
	v_add_co_u32_e32 v53, vcc, 4, v2
	v_addc_co_u32_e32 v54, vcc, 0, v3, vcc
.LBB3_315:
	s_or_saveexec_b64 s[40:41], s[4:5]
	s_mov_b64 s[4:5], s[52:53]
	s_xor_b64 exec, exec, s[40:41]
	s_cbranch_execz .LBB3_463
; %bb.316:
	s_load_dwordx2 s[6:7], s[34:35], 0x50
	v_mbcnt_lo_u32_b32 v2, -1, 0
	v_mbcnt_hi_u32_b32 v32, -1, v2
	v_readfirstlane_b32 s4, v32
	v_mov_b32_e32 v7, 0
	s_mov_b64 s[8:9], s[34:35]
	v_mov_b32_e32 v8, 0
	v_cmp_eq_u32_e64 s[4:5], s4, v32
	s_and_saveexec_b64 s[10:11], s[4:5]
	s_cbranch_execz .LBB3_322
; %bb.317:
	v_mov_b32_e32 v2, 0
	s_waitcnt lgkmcnt(0)
	global_load_dwordx2 v[5:6], v2, s[6:7] offset:24 glc
	s_waitcnt vmcnt(0)
	buffer_wbinvl1_vol
	global_load_dwordx2 v[3:4], v2, s[6:7] offset:40
	global_load_dwordx2 v[7:8], v2, s[6:7]
	s_waitcnt vmcnt(1)
	v_and_b32_e32 v3, v3, v5
	v_and_b32_e32 v4, v4, v6
	v_mul_lo_u32 v4, v4, 24
	v_mul_hi_u32 v9, v3, 24
	v_mul_lo_u32 v3, v3, 24
	v_add_u32_e32 v4, v9, v4
	s_waitcnt vmcnt(0)
	v_add_co_u32_e32 v3, vcc, v7, v3
	v_addc_co_u32_e32 v4, vcc, v8, v4, vcc
	global_load_dwordx2 v[3:4], v[3:4], off glc
	s_waitcnt vmcnt(0)
	global_atomic_cmpswap_x2 v[7:8], v2, v[3:6], s[6:7] offset:24 glc
	s_waitcnt vmcnt(0)
	buffer_wbinvl1_vol
	v_cmp_ne_u64_e32 vcc, v[7:8], v[5:6]
	s_and_saveexec_b64 s[12:13], vcc
	s_cbranch_execz .LBB3_321
; %bb.318:
	s_mov_b64 s[14:15], 0
.LBB3_319:                              ; =>This Inner Loop Header: Depth=1
	s_sleep 1
	global_load_dwordx2 v[3:4], v2, s[6:7] offset:40
	global_load_dwordx2 v[9:10], v2, s[6:7]
	v_mov_b32_e32 v5, v7
	v_mov_b32_e32 v6, v8
	s_waitcnt vmcnt(1)
	v_and_b32_e32 v3, v3, v5
	s_waitcnt vmcnt(0)
	v_mad_u64_u32 v[7:8], s[16:17], v3, 24, v[9:10]
	v_and_b32_e32 v4, v4, v6
	v_mov_b32_e32 v3, v8
	v_mad_u64_u32 v[3:4], s[16:17], v4, 24, v[3:4]
	v_mov_b32_e32 v8, v3
	global_load_dwordx2 v[3:4], v[7:8], off glc
	s_waitcnt vmcnt(0)
	global_atomic_cmpswap_x2 v[7:8], v2, v[3:6], s[6:7] offset:24 glc
	s_waitcnt vmcnt(0)
	buffer_wbinvl1_vol
	v_cmp_eq_u64_e32 vcc, v[7:8], v[5:6]
	s_or_b64 s[14:15], vcc, s[14:15]
	s_andn2_b64 exec, exec, s[14:15]
	s_cbranch_execnz .LBB3_319
; %bb.320:
	s_or_b64 exec, exec, s[14:15]
.LBB3_321:
	s_or_b64 exec, exec, s[12:13]
.LBB3_322:
	s_or_b64 exec, exec, s[10:11]
	v_mov_b32_e32 v6, 0
	s_waitcnt lgkmcnt(0)
	global_load_dwordx2 v[9:10], v6, s[6:7] offset:40
	global_load_dwordx4 v[2:5], v6, s[6:7]
	v_readfirstlane_b32 s11, v8
	v_readfirstlane_b32 s10, v7
	s_mov_b64 s[12:13], exec
	s_waitcnt vmcnt(0)
	v_readfirstlane_b32 s14, v9
	v_readfirstlane_b32 s15, v10
	s_and_b64 s[14:15], s[14:15], s[10:11]
	s_mul_i32 s16, s15, 24
	s_mul_hi_u32 s17, s14, 24
	s_mul_i32 s18, s14, 24
	s_add_i32 s16, s17, s16
	v_mov_b32_e32 v7, s16
	v_add_co_u32_e32 v9, vcc, s18, v2
	v_addc_co_u32_e32 v10, vcc, v3, v7, vcc
	s_and_saveexec_b64 s[16:17], s[4:5]
	s_cbranch_execz .LBB3_324
; %bb.323:
	v_mov_b32_e32 v11, s12
	v_mov_b32_e32 v12, s13
	;; [unrolled: 1-line block ×4, first 2 shown]
	global_store_dwordx4 v[9:10], v[11:14], off offset:8
.LBB3_324:
	s_or_b64 exec, exec, s[16:17]
	s_lshl_b64 s[12:13], s[14:15], 12
	v_mov_b32_e32 v7, s13
	v_add_co_u32_e32 v4, vcc, s12, v4
	v_addc_co_u32_e32 v13, vcc, v5, v7, vcc
	v_lshlrev_b32_e32 v31, 6, v32
	s_mov_b32 s12, 0
	v_mov_b32_e32 v5, 33
	v_mov_b32_e32 v7, v6
	;; [unrolled: 1-line block ×3, first 2 shown]
	v_readfirstlane_b32 s16, v4
	v_readfirstlane_b32 s17, v13
	v_add_co_u32_e32 v11, vcc, v4, v31
	s_mov_b32 s13, s12
	s_mov_b32 s14, s12
	;; [unrolled: 1-line block ×3, first 2 shown]
	s_nop 0
	global_store_dwordx4 v31, v[5:8], s[16:17]
	v_mov_b32_e32 v4, s12
	v_addc_co_u32_e32 v12, vcc, 0, v13, vcc
	v_mov_b32_e32 v5, s13
	v_mov_b32_e32 v6, s14
	;; [unrolled: 1-line block ×3, first 2 shown]
	global_store_dwordx4 v31, v[4:7], s[16:17] offset:16
	global_store_dwordx4 v31, v[4:7], s[16:17] offset:32
	;; [unrolled: 1-line block ×3, first 2 shown]
	s_and_saveexec_b64 s[12:13], s[4:5]
	s_cbranch_execz .LBB3_332
; %bb.325:
	v_mov_b32_e32 v8, 0
	global_load_dwordx2 v[15:16], v8, s[6:7] offset:32 glc
	global_load_dwordx2 v[4:5], v8, s[6:7] offset:40
	v_mov_b32_e32 v13, s10
	v_mov_b32_e32 v14, s11
	s_waitcnt vmcnt(0)
	v_and_b32_e32 v4, s10, v4
	v_and_b32_e32 v5, s11, v5
	v_mul_lo_u32 v5, v5, 24
	v_mul_hi_u32 v6, v4, 24
	v_mul_lo_u32 v4, v4, 24
	v_add_u32_e32 v5, v6, v5
	v_add_co_u32_e32 v6, vcc, v2, v4
	v_addc_co_u32_e32 v7, vcc, v3, v5, vcc
	global_store_dwordx2 v[6:7], v[15:16], off
	s_waitcnt vmcnt(0)
	global_atomic_cmpswap_x2 v[4:5], v8, v[13:16], s[6:7] offset:32 glc
	s_waitcnt vmcnt(0)
	v_cmp_ne_u64_e32 vcc, v[4:5], v[15:16]
	s_and_saveexec_b64 s[14:15], vcc
	s_cbranch_execz .LBB3_328
; %bb.326:
	s_mov_b64 s[16:17], 0
.LBB3_327:                              ; =>This Inner Loop Header: Depth=1
	s_sleep 1
	global_store_dwordx2 v[6:7], v[4:5], off
	v_mov_b32_e32 v2, s10
	v_mov_b32_e32 v3, s11
	s_waitcnt vmcnt(0)
	global_atomic_cmpswap_x2 v[2:3], v8, v[2:5], s[6:7] offset:32 glc
	s_waitcnt vmcnt(0)
	v_cmp_eq_u64_e32 vcc, v[2:3], v[4:5]
	v_mov_b32_e32 v5, v3
	s_or_b64 s[16:17], vcc, s[16:17]
	v_mov_b32_e32 v4, v2
	s_andn2_b64 exec, exec, s[16:17]
	s_cbranch_execnz .LBB3_327
.LBB3_328:
	s_or_b64 exec, exec, s[14:15]
	v_mov_b32_e32 v5, 0
	global_load_dwordx2 v[2:3], v5, s[6:7] offset:16
	s_mov_b64 s[14:15], exec
	v_mbcnt_lo_u32_b32 v4, s14, 0
	v_mbcnt_hi_u32_b32 v4, s15, v4
	v_cmp_eq_u32_e32 vcc, 0, v4
	s_and_saveexec_b64 s[16:17], vcc
	s_cbranch_execz .LBB3_330
; %bb.329:
	s_bcnt1_i32_b64 s14, s[14:15]
	v_mov_b32_e32 v4, s14
	s_waitcnt vmcnt(0)
	global_atomic_add_x2 v[2:3], v[4:5], off offset:8
.LBB3_330:
	s_or_b64 exec, exec, s[16:17]
	s_waitcnt vmcnt(0)
	global_load_dwordx2 v[4:5], v[2:3], off offset:16
	s_waitcnt vmcnt(0)
	v_cmp_eq_u64_e32 vcc, 0, v[4:5]
	s_cbranch_vccnz .LBB3_332
; %bb.331:
	global_load_dword v2, v[2:3], off offset:24
	v_mov_b32_e32 v3, 0
	s_waitcnt vmcnt(0)
	v_readfirstlane_b32 s14, v2
	s_and_b32 m0, s14, 0xffffff
	global_store_dwordx2 v[4:5], v[2:3], off
	s_sendmsg sendmsg(MSG_INTERRUPT)
.LBB3_332:
	s_or_b64 exec, exec, s[12:13]
	s_branch .LBB3_336
.LBB3_333:                              ;   in Loop: Header=BB3_336 Depth=1
	s_or_b64 exec, exec, s[12:13]
	v_readfirstlane_b32 s12, v2
	s_cmp_eq_u32 s12, 0
	s_cbranch_scc1 .LBB3_335
; %bb.334:                              ;   in Loop: Header=BB3_336 Depth=1
	s_sleep 1
	s_cbranch_execnz .LBB3_336
	s_branch .LBB3_338
.LBB3_335:
	s_branch .LBB3_338
.LBB3_336:                              ; =>This Inner Loop Header: Depth=1
	v_mov_b32_e32 v2, 1
	s_and_saveexec_b64 s[12:13], s[4:5]
	s_cbranch_execz .LBB3_333
; %bb.337:                              ;   in Loop: Header=BB3_336 Depth=1
	global_load_dword v2, v[9:10], off offset:20 glc
	s_waitcnt vmcnt(0)
	buffer_wbinvl1_vol
	v_and_b32_e32 v2, 1, v2
	s_branch .LBB3_333
.LBB3_338:
	global_load_dwordx2 v[2:3], v[11:12], off
	s_and_saveexec_b64 s[12:13], s[4:5]
	s_cbranch_execz .LBB3_341
; %bb.339:
	v_mov_b32_e32 v10, 0
	global_load_dwordx2 v[4:5], v10, s[6:7] offset:40
	global_load_dwordx2 v[13:14], v10, s[6:7] offset:24 glc
	global_load_dwordx2 v[6:7], v10, s[6:7]
	s_waitcnt vmcnt(2)
	v_readfirstlane_b32 s14, v4
	v_readfirstlane_b32 s15, v5
	s_add_u32 s16, s14, 1
	s_addc_u32 s17, s15, 0
	s_add_u32 s4, s16, s10
	s_addc_u32 s5, s17, s11
	s_cmp_eq_u64 s[4:5], 0
	s_cselect_b32 s5, s17, s5
	s_cselect_b32 s4, s16, s4
	s_and_b64 s[10:11], s[4:5], s[14:15]
	s_mul_i32 s11, s11, 24
	s_mul_hi_u32 s14, s10, 24
	s_mul_i32 s10, s10, 24
	s_add_i32 s11, s14, s11
	v_mov_b32_e32 v4, s11
	s_waitcnt vmcnt(0)
	v_add_co_u32_e32 v8, vcc, s10, v6
	v_addc_co_u32_e32 v9, vcc, v7, v4, vcc
	v_mov_b32_e32 v11, s4
	global_store_dwordx2 v[8:9], v[13:14], off
	v_mov_b32_e32 v12, s5
	s_waitcnt vmcnt(0)
	global_atomic_cmpswap_x2 v[6:7], v10, v[11:14], s[6:7] offset:24 glc
	s_mov_b64 s[10:11], 0
	s_waitcnt vmcnt(0)
	v_cmp_ne_u64_e32 vcc, v[6:7], v[13:14]
	s_and_b64 exec, exec, vcc
	s_cbranch_execz .LBB3_341
.LBB3_340:                              ; =>This Inner Loop Header: Depth=1
	s_sleep 1
	global_store_dwordx2 v[8:9], v[6:7], off
	v_mov_b32_e32 v4, s4
	v_mov_b32_e32 v5, s5
	s_waitcnt vmcnt(0)
	global_atomic_cmpswap_x2 v[4:5], v10, v[4:7], s[6:7] offset:24 glc
	s_waitcnt vmcnt(0)
	v_cmp_eq_u64_e32 vcc, v[4:5], v[6:7]
	v_mov_b32_e32 v7, v5
	s_or_b64 s[10:11], vcc, s[10:11]
	v_mov_b32_e32 v6, v4
	s_andn2_b64 exec, exec, s[10:11]
	s_cbranch_execnz .LBB3_340
.LBB3_341:
	s_or_b64 exec, exec, s[12:13]
	s_getpc_b64 s[10:11]
	s_add_u32 s10, s10, .str.28@rel32@lo+4
	s_addc_u32 s11, s11, .str.28@rel32@hi+12
	s_cmp_lg_u64 s[10:11], 0
	s_cbranch_scc0 .LBB3_434
; %bb.342:
	s_waitcnt vmcnt(0)
	v_and_b32_e32 v8, -3, v2
	v_mov_b32_e32 v9, v3
	s_mov_b64 s[12:13], 35
	v_mov_b32_e32 v28, 0
	v_mov_b32_e32 v6, 2
	;; [unrolled: 1-line block ×3, first 2 shown]
	s_branch .LBB3_344
.LBB3_343:                              ;   in Loop: Header=BB3_344 Depth=1
	s_or_b64 exec, exec, s[18:19]
	s_sub_u32 s12, s12, s14
	s_subb_u32 s13, s13, s15
	s_add_u32 s10, s10, s14
	s_addc_u32 s11, s11, s15
	s_cmp_lg_u64 s[12:13], 0
	s_cbranch_scc0 .LBB3_433
.LBB3_344:                              ; =>This Loop Header: Depth=1
                                        ;     Child Loop BB3_347 Depth 2
                                        ;     Child Loop BB3_356 Depth 2
	;; [unrolled: 1-line block ×11, first 2 shown]
	v_cmp_lt_u64_e64 s[4:5], s[12:13], 56
	v_cmp_gt_u64_e64 s[16:17], s[12:13], 7
	s_and_b64 s[4:5], s[4:5], exec
	s_cselect_b32 s15, s13, 0
	s_cselect_b32 s14, s12, 56
	s_add_u32 s4, s10, 8
	s_addc_u32 s5, s11, 0
	s_and_b64 vcc, exec, s[16:17]
	s_cbranch_vccnz .LBB3_348
; %bb.345:                              ;   in Loop: Header=BB3_344 Depth=1
	s_cmp_eq_u64 s[12:13], 0
	s_cbranch_scc1 .LBB3_349
; %bb.346:                              ;   in Loop: Header=BB3_344 Depth=1
	s_waitcnt vmcnt(0)
	v_mov_b32_e32 v10, 0
	s_lshl_b64 s[4:5], s[14:15], 3
	s_mov_b64 s[16:17], 0
	v_mov_b32_e32 v11, 0
	s_mov_b64 s[18:19], s[10:11]
.LBB3_347:                              ;   Parent Loop BB3_344 Depth=1
                                        ; =>  This Inner Loop Header: Depth=2
	global_load_ubyte v4, v28, s[18:19]
	s_waitcnt vmcnt(0)
	v_and_b32_e32 v27, 0xffff, v4
	v_lshlrev_b64 v[4:5], s16, v[27:28]
	s_add_u32 s16, s16, 8
	s_addc_u32 s17, s17, 0
	s_add_u32 s18, s18, 1
	s_addc_u32 s19, s19, 0
	v_or_b32_e32 v10, v4, v10
	s_cmp_lg_u32 s4, s16
	v_or_b32_e32 v11, v5, v11
	s_cbranch_scc1 .LBB3_347
	s_branch .LBB3_350
.LBB3_348:                              ;   in Loop: Header=BB3_344 Depth=1
	s_mov_b64 s[16:17], -1
	s_branch .LBB3_351
.LBB3_349:                              ;   in Loop: Header=BB3_344 Depth=1
	s_waitcnt vmcnt(0)
	v_mov_b32_e32 v10, 0
	v_mov_b32_e32 v11, 0
.LBB3_350:                              ;   in Loop: Header=BB3_344 Depth=1
	s_mov_b64 s[16:17], 0
	s_mov_b64 s[4:5], s[10:11]
.LBB3_351:                              ;   in Loop: Header=BB3_344 Depth=1
	s_andn2_b64 vcc, exec, s[16:17]
	s_mov_b32 s20, 0
	s_cbranch_vccnz .LBB3_353
; %bb.352:                              ;   in Loop: Header=BB3_344 Depth=1
	global_load_dwordx2 v[10:11], v28, s[10:11]
	s_add_i32 s20, s14, -8
.LBB3_353:                              ;   in Loop: Header=BB3_344 Depth=1
	s_add_u32 s16, s4, 8
	s_addc_u32 s17, s5, 0
	s_cmp_gt_u32 s20, 7
	s_cbranch_scc1 .LBB3_357
; %bb.354:                              ;   in Loop: Header=BB3_344 Depth=1
	s_cmp_eq_u32 s20, 0
	s_cbranch_scc1 .LBB3_358
; %bb.355:                              ;   in Loop: Header=BB3_344 Depth=1
	v_mov_b32_e32 v12, 0
	s_mov_b64 s[16:17], 0
	v_mov_b32_e32 v13, 0
	s_mov_b64 s[18:19], 0
.LBB3_356:                              ;   Parent Loop BB3_344 Depth=1
                                        ; =>  This Inner Loop Header: Depth=2
	s_add_u32 s22, s4, s18
	s_addc_u32 s23, s5, s19
	global_load_ubyte v4, v28, s[22:23]
	s_add_u32 s18, s18, 1
	s_addc_u32 s19, s19, 0
	s_waitcnt vmcnt(0)
	v_and_b32_e32 v27, 0xffff, v4
	v_lshlrev_b64 v[4:5], s16, v[27:28]
	s_add_u32 s16, s16, 8
	s_addc_u32 s17, s17, 0
	v_or_b32_e32 v12, v4, v12
	s_cmp_lg_u32 s20, s18
	v_or_b32_e32 v13, v5, v13
	s_cbranch_scc1 .LBB3_356
	s_branch .LBB3_359
.LBB3_357:                              ;   in Loop: Header=BB3_344 Depth=1
	s_mov_b64 s[18:19], -1
                                        ; implicit-def: $vgpr12_vgpr13
	s_branch .LBB3_360
.LBB3_358:                              ;   in Loop: Header=BB3_344 Depth=1
	v_mov_b32_e32 v12, 0
	v_mov_b32_e32 v13, 0
.LBB3_359:                              ;   in Loop: Header=BB3_344 Depth=1
	s_mov_b64 s[18:19], 0
	s_mov_b64 s[16:17], s[4:5]
.LBB3_360:                              ;   in Loop: Header=BB3_344 Depth=1
	s_andn2_b64 vcc, exec, s[18:19]
	s_mov_b32 s21, 0
	s_cbranch_vccnz .LBB3_362
; %bb.361:                              ;   in Loop: Header=BB3_344 Depth=1
	global_load_dwordx2 v[12:13], v28, s[4:5]
	s_add_i32 s21, s20, -8
.LBB3_362:                              ;   in Loop: Header=BB3_344 Depth=1
	s_add_u32 s4, s16, 8
	s_addc_u32 s5, s17, 0
	s_cmp_gt_u32 s21, 7
	s_cbranch_scc1 .LBB3_366
; %bb.363:                              ;   in Loop: Header=BB3_344 Depth=1
	s_cmp_eq_u32 s21, 0
	s_cbranch_scc1 .LBB3_367
; %bb.364:                              ;   in Loop: Header=BB3_344 Depth=1
	v_mov_b32_e32 v14, 0
	s_mov_b64 s[4:5], 0
	v_mov_b32_e32 v15, 0
	s_mov_b64 s[18:19], 0
.LBB3_365:                              ;   Parent Loop BB3_344 Depth=1
                                        ; =>  This Inner Loop Header: Depth=2
	s_add_u32 s22, s16, s18
	s_addc_u32 s23, s17, s19
	global_load_ubyte v4, v28, s[22:23]
	s_add_u32 s18, s18, 1
	s_addc_u32 s19, s19, 0
	s_waitcnt vmcnt(0)
	v_and_b32_e32 v27, 0xffff, v4
	v_lshlrev_b64 v[4:5], s4, v[27:28]
	s_add_u32 s4, s4, 8
	s_addc_u32 s5, s5, 0
	v_or_b32_e32 v14, v4, v14
	s_cmp_lg_u32 s21, s18
	v_or_b32_e32 v15, v5, v15
	s_cbranch_scc1 .LBB3_365
	s_branch .LBB3_368
.LBB3_366:                              ;   in Loop: Header=BB3_344 Depth=1
	s_mov_b64 s[18:19], -1
	s_branch .LBB3_369
.LBB3_367:                              ;   in Loop: Header=BB3_344 Depth=1
	v_mov_b32_e32 v14, 0
	v_mov_b32_e32 v15, 0
.LBB3_368:                              ;   in Loop: Header=BB3_344 Depth=1
	s_mov_b64 s[18:19], 0
	s_mov_b64 s[4:5], s[16:17]
.LBB3_369:                              ;   in Loop: Header=BB3_344 Depth=1
	s_andn2_b64 vcc, exec, s[18:19]
	s_mov_b32 s20, 0
	s_cbranch_vccnz .LBB3_371
; %bb.370:                              ;   in Loop: Header=BB3_344 Depth=1
	global_load_dwordx2 v[14:15], v28, s[16:17]
	s_add_i32 s20, s21, -8
.LBB3_371:                              ;   in Loop: Header=BB3_344 Depth=1
	s_add_u32 s16, s4, 8
	s_addc_u32 s17, s5, 0
	s_cmp_gt_u32 s20, 7
	s_cbranch_scc1 .LBB3_375
; %bb.372:                              ;   in Loop: Header=BB3_344 Depth=1
	s_cmp_eq_u32 s20, 0
	s_cbranch_scc1 .LBB3_376
; %bb.373:                              ;   in Loop: Header=BB3_344 Depth=1
	v_mov_b32_e32 v16, 0
	s_mov_b64 s[16:17], 0
	v_mov_b32_e32 v17, 0
	s_mov_b64 s[18:19], 0
.LBB3_374:                              ;   Parent Loop BB3_344 Depth=1
                                        ; =>  This Inner Loop Header: Depth=2
	s_add_u32 s22, s4, s18
	s_addc_u32 s23, s5, s19
	global_load_ubyte v4, v28, s[22:23]
	s_add_u32 s18, s18, 1
	s_addc_u32 s19, s19, 0
	s_waitcnt vmcnt(0)
	v_and_b32_e32 v27, 0xffff, v4
	v_lshlrev_b64 v[4:5], s16, v[27:28]
	s_add_u32 s16, s16, 8
	s_addc_u32 s17, s17, 0
	v_or_b32_e32 v16, v4, v16
	s_cmp_lg_u32 s20, s18
	v_or_b32_e32 v17, v5, v17
	s_cbranch_scc1 .LBB3_374
	s_branch .LBB3_377
.LBB3_375:                              ;   in Loop: Header=BB3_344 Depth=1
	s_mov_b64 s[18:19], -1
                                        ; implicit-def: $vgpr16_vgpr17
	s_branch .LBB3_378
.LBB3_376:                              ;   in Loop: Header=BB3_344 Depth=1
	v_mov_b32_e32 v16, 0
	v_mov_b32_e32 v17, 0
.LBB3_377:                              ;   in Loop: Header=BB3_344 Depth=1
	s_mov_b64 s[18:19], 0
	s_mov_b64 s[16:17], s[4:5]
.LBB3_378:                              ;   in Loop: Header=BB3_344 Depth=1
	s_andn2_b64 vcc, exec, s[18:19]
	s_mov_b32 s21, 0
	s_cbranch_vccnz .LBB3_380
; %bb.379:                              ;   in Loop: Header=BB3_344 Depth=1
	global_load_dwordx2 v[16:17], v28, s[4:5]
	s_add_i32 s21, s20, -8
.LBB3_380:                              ;   in Loop: Header=BB3_344 Depth=1
	s_add_u32 s4, s16, 8
	s_addc_u32 s5, s17, 0
	s_cmp_gt_u32 s21, 7
	s_cbranch_scc1 .LBB3_384
; %bb.381:                              ;   in Loop: Header=BB3_344 Depth=1
	s_cmp_eq_u32 s21, 0
	s_cbranch_scc1 .LBB3_385
; %bb.382:                              ;   in Loop: Header=BB3_344 Depth=1
	v_mov_b32_e32 v18, 0
	s_mov_b64 s[4:5], 0
	v_mov_b32_e32 v19, 0
	s_mov_b64 s[18:19], 0
.LBB3_383:                              ;   Parent Loop BB3_344 Depth=1
                                        ; =>  This Inner Loop Header: Depth=2
	s_add_u32 s22, s16, s18
	s_addc_u32 s23, s17, s19
	global_load_ubyte v4, v28, s[22:23]
	s_add_u32 s18, s18, 1
	s_addc_u32 s19, s19, 0
	s_waitcnt vmcnt(0)
	v_and_b32_e32 v27, 0xffff, v4
	v_lshlrev_b64 v[4:5], s4, v[27:28]
	s_add_u32 s4, s4, 8
	s_addc_u32 s5, s5, 0
	v_or_b32_e32 v18, v4, v18
	s_cmp_lg_u32 s21, s18
	v_or_b32_e32 v19, v5, v19
	s_cbranch_scc1 .LBB3_383
	s_branch .LBB3_386
.LBB3_384:                              ;   in Loop: Header=BB3_344 Depth=1
	s_mov_b64 s[18:19], -1
	s_branch .LBB3_387
.LBB3_385:                              ;   in Loop: Header=BB3_344 Depth=1
	v_mov_b32_e32 v18, 0
	v_mov_b32_e32 v19, 0
.LBB3_386:                              ;   in Loop: Header=BB3_344 Depth=1
	s_mov_b64 s[18:19], 0
	s_mov_b64 s[4:5], s[16:17]
.LBB3_387:                              ;   in Loop: Header=BB3_344 Depth=1
	s_andn2_b64 vcc, exec, s[18:19]
	s_mov_b32 s20, 0
	s_cbranch_vccnz .LBB3_389
; %bb.388:                              ;   in Loop: Header=BB3_344 Depth=1
	global_load_dwordx2 v[18:19], v28, s[16:17]
	s_add_i32 s20, s21, -8
.LBB3_389:                              ;   in Loop: Header=BB3_344 Depth=1
	s_add_u32 s16, s4, 8
	s_addc_u32 s17, s5, 0
	s_cmp_gt_u32 s20, 7
	s_cbranch_scc1 .LBB3_393
; %bb.390:                              ;   in Loop: Header=BB3_344 Depth=1
	s_cmp_eq_u32 s20, 0
	s_cbranch_scc1 .LBB3_394
; %bb.391:                              ;   in Loop: Header=BB3_344 Depth=1
	v_mov_b32_e32 v20, 0
	s_mov_b64 s[16:17], 0
	v_mov_b32_e32 v21, 0
	s_mov_b64 s[18:19], 0
.LBB3_392:                              ;   Parent Loop BB3_344 Depth=1
                                        ; =>  This Inner Loop Header: Depth=2
	s_add_u32 s22, s4, s18
	s_addc_u32 s23, s5, s19
	global_load_ubyte v4, v28, s[22:23]
	s_add_u32 s18, s18, 1
	s_addc_u32 s19, s19, 0
	s_waitcnt vmcnt(0)
	v_and_b32_e32 v27, 0xffff, v4
	v_lshlrev_b64 v[4:5], s16, v[27:28]
	s_add_u32 s16, s16, 8
	s_addc_u32 s17, s17, 0
	v_or_b32_e32 v20, v4, v20
	s_cmp_lg_u32 s20, s18
	v_or_b32_e32 v21, v5, v21
	s_cbranch_scc1 .LBB3_392
	s_branch .LBB3_395
.LBB3_393:                              ;   in Loop: Header=BB3_344 Depth=1
	s_mov_b64 s[18:19], -1
                                        ; implicit-def: $vgpr20_vgpr21
	s_branch .LBB3_396
.LBB3_394:                              ;   in Loop: Header=BB3_344 Depth=1
	v_mov_b32_e32 v20, 0
	v_mov_b32_e32 v21, 0
.LBB3_395:                              ;   in Loop: Header=BB3_344 Depth=1
	s_mov_b64 s[18:19], 0
	s_mov_b64 s[16:17], s[4:5]
.LBB3_396:                              ;   in Loop: Header=BB3_344 Depth=1
	s_andn2_b64 vcc, exec, s[18:19]
	s_mov_b32 s21, 0
	s_cbranch_vccnz .LBB3_398
; %bb.397:                              ;   in Loop: Header=BB3_344 Depth=1
	global_load_dwordx2 v[20:21], v28, s[4:5]
	s_add_i32 s21, s20, -8
.LBB3_398:                              ;   in Loop: Header=BB3_344 Depth=1
	s_cmp_gt_u32 s21, 7
	s_cbranch_scc1 .LBB3_402
; %bb.399:                              ;   in Loop: Header=BB3_344 Depth=1
	s_cmp_eq_u32 s21, 0
	s_cbranch_scc1 .LBB3_403
; %bb.400:                              ;   in Loop: Header=BB3_344 Depth=1
	v_mov_b32_e32 v22, 0
	s_mov_b64 s[4:5], 0
	v_mov_b32_e32 v23, 0
	s_mov_b64 s[18:19], s[16:17]
.LBB3_401:                              ;   Parent Loop BB3_344 Depth=1
                                        ; =>  This Inner Loop Header: Depth=2
	global_load_ubyte v4, v28, s[18:19]
	s_add_i32 s21, s21, -1
	s_waitcnt vmcnt(0)
	v_and_b32_e32 v27, 0xffff, v4
	v_lshlrev_b64 v[4:5], s4, v[27:28]
	s_add_u32 s4, s4, 8
	s_addc_u32 s5, s5, 0
	s_add_u32 s18, s18, 1
	s_addc_u32 s19, s19, 0
	v_or_b32_e32 v22, v4, v22
	s_cmp_lg_u32 s21, 0
	v_or_b32_e32 v23, v5, v23
	s_cbranch_scc1 .LBB3_401
	s_branch .LBB3_404
.LBB3_402:                              ;   in Loop: Header=BB3_344 Depth=1
	s_mov_b64 s[4:5], -1
	s_branch .LBB3_405
.LBB3_403:                              ;   in Loop: Header=BB3_344 Depth=1
	v_mov_b32_e32 v22, 0
	v_mov_b32_e32 v23, 0
.LBB3_404:                              ;   in Loop: Header=BB3_344 Depth=1
	s_mov_b64 s[4:5], 0
.LBB3_405:                              ;   in Loop: Header=BB3_344 Depth=1
	s_andn2_b64 vcc, exec, s[4:5]
	s_cbranch_vccnz .LBB3_407
; %bb.406:                              ;   in Loop: Header=BB3_344 Depth=1
	global_load_dwordx2 v[22:23], v28, s[16:17]
.LBB3_407:                              ;   in Loop: Header=BB3_344 Depth=1
	v_readfirstlane_b32 s4, v32
	v_mov_b32_e32 v4, 0
	v_mov_b32_e32 v5, 0
	v_cmp_eq_u32_e64 s[4:5], s4, v32
	s_and_saveexec_b64 s[16:17], s[4:5]
	s_cbranch_execz .LBB3_413
; %bb.408:                              ;   in Loop: Header=BB3_344 Depth=1
	global_load_dwordx2 v[26:27], v28, s[6:7] offset:24 glc
	s_waitcnt vmcnt(0)
	buffer_wbinvl1_vol
	global_load_dwordx2 v[4:5], v28, s[6:7] offset:40
	global_load_dwordx2 v[24:25], v28, s[6:7]
	s_waitcnt vmcnt(1)
	v_and_b32_e32 v4, v4, v26
	v_and_b32_e32 v5, v5, v27
	v_mul_lo_u32 v5, v5, 24
	v_mul_hi_u32 v29, v4, 24
	v_mul_lo_u32 v4, v4, 24
	v_add_u32_e32 v5, v29, v5
	s_waitcnt vmcnt(0)
	v_add_co_u32_e32 v4, vcc, v24, v4
	v_addc_co_u32_e32 v5, vcc, v25, v5, vcc
	global_load_dwordx2 v[24:25], v[4:5], off glc
	s_waitcnt vmcnt(0)
	global_atomic_cmpswap_x2 v[4:5], v28, v[24:27], s[6:7] offset:24 glc
	s_waitcnt vmcnt(0)
	buffer_wbinvl1_vol
	v_cmp_ne_u64_e32 vcc, v[4:5], v[26:27]
	s_and_saveexec_b64 s[18:19], vcc
	s_cbranch_execz .LBB3_412
; %bb.409:                              ;   in Loop: Header=BB3_344 Depth=1
	s_mov_b64 s[20:21], 0
.LBB3_410:                              ;   Parent Loop BB3_344 Depth=1
                                        ; =>  This Inner Loop Header: Depth=2
	s_sleep 1
	global_load_dwordx2 v[24:25], v28, s[6:7] offset:40
	global_load_dwordx2 v[29:30], v28, s[6:7]
	v_mov_b32_e32 v27, v5
	v_mov_b32_e32 v26, v4
	s_waitcnt vmcnt(1)
	v_and_b32_e32 v4, v24, v26
	s_waitcnt vmcnt(0)
	v_mad_u64_u32 v[4:5], s[22:23], v4, 24, v[29:30]
	v_and_b32_e32 v24, v25, v27
	v_mad_u64_u32 v[24:25], s[22:23], v24, 24, v[5:6]
	v_mov_b32_e32 v5, v24
	global_load_dwordx2 v[24:25], v[4:5], off glc
	s_waitcnt vmcnt(0)
	global_atomic_cmpswap_x2 v[4:5], v28, v[24:27], s[6:7] offset:24 glc
	s_waitcnt vmcnt(0)
	buffer_wbinvl1_vol
	v_cmp_eq_u64_e32 vcc, v[4:5], v[26:27]
	s_or_b64 s[20:21], vcc, s[20:21]
	s_andn2_b64 exec, exec, s[20:21]
	s_cbranch_execnz .LBB3_410
; %bb.411:                              ;   in Loop: Header=BB3_344 Depth=1
	s_or_b64 exec, exec, s[20:21]
.LBB3_412:                              ;   in Loop: Header=BB3_344 Depth=1
	s_or_b64 exec, exec, s[18:19]
.LBB3_413:                              ;   in Loop: Header=BB3_344 Depth=1
	s_or_b64 exec, exec, s[16:17]
	global_load_dwordx2 v[29:30], v28, s[6:7] offset:40
	global_load_dwordx4 v[24:27], v28, s[6:7]
	v_readfirstlane_b32 s17, v5
	v_readfirstlane_b32 s16, v4
	s_mov_b64 s[18:19], exec
	s_waitcnt vmcnt(1)
	v_readfirstlane_b32 s20, v29
	v_readfirstlane_b32 s21, v30
	s_and_b64 s[20:21], s[20:21], s[16:17]
	s_mul_i32 s22, s21, 24
	s_mul_hi_u32 s23, s20, 24
	s_mul_i32 s24, s20, 24
	s_add_i32 s22, s23, s22
	v_mov_b32_e32 v4, s22
	s_waitcnt vmcnt(0)
	v_add_co_u32_e32 v29, vcc, s24, v24
	v_addc_co_u32_e32 v30, vcc, v25, v4, vcc
	s_and_saveexec_b64 s[22:23], s[4:5]
	s_cbranch_execz .LBB3_415
; %bb.414:                              ;   in Loop: Header=BB3_344 Depth=1
	v_mov_b32_e32 v4, s18
	v_mov_b32_e32 v5, s19
	global_store_dwordx4 v[29:30], v[4:7], off offset:8
.LBB3_415:                              ;   in Loop: Header=BB3_344 Depth=1
	s_or_b64 exec, exec, s[22:23]
	s_lshl_b64 s[18:19], s[20:21], 12
	v_cmp_gt_u64_e64 s[20:21], s[12:13], 56
	v_mov_b32_e32 v4, s19
	v_add_co_u32_e32 v26, vcc, s18, v26
	s_and_b64 s[18:19], s[20:21], exec
	s_cselect_b32 s18, 0, 2
	s_lshl_b32 s19, s14, 2
	v_addc_co_u32_e32 v33, vcc, v27, v4, vcc
	s_add_i32 s19, s19, 28
	v_and_b32_e32 v4, 0xffffff1f, v8
	s_and_b32 s19, s19, 0x1e0
	v_or_b32_e32 v4, s18, v4
	v_or_b32_e32 v8, s19, v4
	v_readfirstlane_b32 s18, v26
	v_readfirstlane_b32 s19, v33
	s_nop 4
	global_store_dwordx4 v31, v[8:11], s[18:19]
	global_store_dwordx4 v31, v[12:15], s[18:19] offset:16
	global_store_dwordx4 v31, v[16:19], s[18:19] offset:32
	;; [unrolled: 1-line block ×3, first 2 shown]
	s_and_saveexec_b64 s[18:19], s[4:5]
	s_cbranch_execz .LBB3_423
; %bb.416:                              ;   in Loop: Header=BB3_344 Depth=1
	global_load_dwordx2 v[12:13], v28, s[6:7] offset:32 glc
	global_load_dwordx2 v[4:5], v28, s[6:7] offset:40
	v_mov_b32_e32 v10, s16
	v_mov_b32_e32 v11, s17
	s_waitcnt vmcnt(0)
	v_readfirstlane_b32 s20, v4
	v_readfirstlane_b32 s21, v5
	s_and_b64 s[20:21], s[20:21], s[16:17]
	s_mul_i32 s21, s21, 24
	s_mul_hi_u32 s22, s20, 24
	s_mul_i32 s20, s20, 24
	s_add_i32 s21, s22, s21
	v_mov_b32_e32 v5, s21
	v_add_co_u32_e32 v4, vcc, s20, v24
	v_addc_co_u32_e32 v5, vcc, v25, v5, vcc
	global_store_dwordx2 v[4:5], v[12:13], off
	s_waitcnt vmcnt(0)
	global_atomic_cmpswap_x2 v[10:11], v28, v[10:13], s[6:7] offset:32 glc
	s_waitcnt vmcnt(0)
	v_cmp_ne_u64_e32 vcc, v[10:11], v[12:13]
	s_and_saveexec_b64 s[20:21], vcc
	s_cbranch_execz .LBB3_419
; %bb.417:                              ;   in Loop: Header=BB3_344 Depth=1
	s_mov_b64 s[22:23], 0
.LBB3_418:                              ;   Parent Loop BB3_344 Depth=1
                                        ; =>  This Inner Loop Header: Depth=2
	s_sleep 1
	global_store_dwordx2 v[4:5], v[10:11], off
	v_mov_b32_e32 v8, s16
	v_mov_b32_e32 v9, s17
	s_waitcnt vmcnt(0)
	global_atomic_cmpswap_x2 v[8:9], v28, v[8:11], s[6:7] offset:32 glc
	s_waitcnt vmcnt(0)
	v_cmp_eq_u64_e32 vcc, v[8:9], v[10:11]
	v_mov_b32_e32 v11, v9
	s_or_b64 s[22:23], vcc, s[22:23]
	v_mov_b32_e32 v10, v8
	s_andn2_b64 exec, exec, s[22:23]
	s_cbranch_execnz .LBB3_418
.LBB3_419:                              ;   in Loop: Header=BB3_344 Depth=1
	s_or_b64 exec, exec, s[20:21]
	global_load_dwordx2 v[4:5], v28, s[6:7] offset:16
	s_mov_b64 s[22:23], exec
	v_mbcnt_lo_u32_b32 v8, s22, 0
	v_mbcnt_hi_u32_b32 v8, s23, v8
	v_cmp_eq_u32_e32 vcc, 0, v8
	s_and_saveexec_b64 s[20:21], vcc
	s_cbranch_execz .LBB3_421
; %bb.420:                              ;   in Loop: Header=BB3_344 Depth=1
	s_bcnt1_i32_b64 s22, s[22:23]
	v_mov_b32_e32 v27, s22
	s_waitcnt vmcnt(0)
	global_atomic_add_x2 v[4:5], v[27:28], off offset:8
.LBB3_421:                              ;   in Loop: Header=BB3_344 Depth=1
	s_or_b64 exec, exec, s[20:21]
	s_waitcnt vmcnt(0)
	global_load_dwordx2 v[8:9], v[4:5], off offset:16
	s_waitcnt vmcnt(0)
	v_cmp_eq_u64_e32 vcc, 0, v[8:9]
	s_cbranch_vccnz .LBB3_423
; %bb.422:                              ;   in Loop: Header=BB3_344 Depth=1
	global_load_dword v27, v[4:5], off offset:24
	s_waitcnt vmcnt(0)
	v_readfirstlane_b32 s20, v27
	s_and_b32 m0, s20, 0xffffff
	global_store_dwordx2 v[8:9], v[27:28], off
	s_sendmsg sendmsg(MSG_INTERRUPT)
.LBB3_423:                              ;   in Loop: Header=BB3_344 Depth=1
	s_or_b64 exec, exec, s[18:19]
	v_add_co_u32_e32 v4, vcc, v26, v31
	v_addc_co_u32_e32 v5, vcc, 0, v33, vcc
	s_branch .LBB3_427
.LBB3_424:                              ;   in Loop: Header=BB3_427 Depth=2
	s_or_b64 exec, exec, s[18:19]
	v_readfirstlane_b32 s18, v8
	s_cmp_eq_u32 s18, 0
	s_cbranch_scc1 .LBB3_426
; %bb.425:                              ;   in Loop: Header=BB3_427 Depth=2
	s_sleep 1
	s_cbranch_execnz .LBB3_427
	s_branch .LBB3_429
.LBB3_426:                              ;   in Loop: Header=BB3_344 Depth=1
	s_branch .LBB3_429
.LBB3_427:                              ;   Parent Loop BB3_344 Depth=1
                                        ; =>  This Inner Loop Header: Depth=2
	v_mov_b32_e32 v8, 1
	s_and_saveexec_b64 s[18:19], s[4:5]
	s_cbranch_execz .LBB3_424
; %bb.428:                              ;   in Loop: Header=BB3_427 Depth=2
	global_load_dword v8, v[29:30], off offset:20 glc
	s_waitcnt vmcnt(0)
	buffer_wbinvl1_vol
	v_and_b32_e32 v8, 1, v8
	s_branch .LBB3_424
.LBB3_429:                              ;   in Loop: Header=BB3_344 Depth=1
	global_load_dwordx4 v[8:11], v[4:5], off
	s_and_saveexec_b64 s[18:19], s[4:5]
	s_cbranch_execz .LBB3_343
; %bb.430:                              ;   in Loop: Header=BB3_344 Depth=1
	global_load_dwordx2 v[4:5], v28, s[6:7] offset:40
	global_load_dwordx2 v[14:15], v28, s[6:7] offset:24 glc
	global_load_dwordx2 v[10:11], v28, s[6:7]
	s_waitcnt vmcnt(2)
	v_readfirstlane_b32 s20, v4
	v_readfirstlane_b32 s21, v5
	s_add_u32 s22, s20, 1
	s_addc_u32 s23, s21, 0
	s_add_u32 s4, s22, s16
	s_addc_u32 s5, s23, s17
	s_cmp_eq_u64 s[4:5], 0
	s_cselect_b32 s5, s23, s5
	s_cselect_b32 s4, s22, s4
	s_and_b64 s[16:17], s[4:5], s[20:21]
	s_mul_i32 s17, s17, 24
	s_mul_hi_u32 s20, s16, 24
	s_mul_i32 s16, s16, 24
	s_add_i32 s17, s20, s17
	v_mov_b32_e32 v5, s17
	s_waitcnt vmcnt(0)
	v_add_co_u32_e32 v4, vcc, s16, v10
	v_addc_co_u32_e32 v5, vcc, v11, v5, vcc
	v_mov_b32_e32 v12, s4
	global_store_dwordx2 v[4:5], v[14:15], off
	v_mov_b32_e32 v13, s5
	s_waitcnt vmcnt(0)
	global_atomic_cmpswap_x2 v[12:13], v28, v[12:15], s[6:7] offset:24 glc
	s_waitcnt vmcnt(0)
	v_cmp_ne_u64_e32 vcc, v[12:13], v[14:15]
	s_and_b64 exec, exec, vcc
	s_cbranch_execz .LBB3_343
; %bb.431:                              ;   in Loop: Header=BB3_344 Depth=1
	s_mov_b64 s[16:17], 0
.LBB3_432:                              ;   Parent Loop BB3_344 Depth=1
                                        ; =>  This Inner Loop Header: Depth=2
	s_sleep 1
	global_store_dwordx2 v[4:5], v[12:13], off
	v_mov_b32_e32 v10, s4
	v_mov_b32_e32 v11, s5
	s_waitcnt vmcnt(0)
	global_atomic_cmpswap_x2 v[10:11], v28, v[10:13], s[6:7] offset:24 glc
	s_waitcnt vmcnt(0)
	v_cmp_eq_u64_e32 vcc, v[10:11], v[12:13]
	v_mov_b32_e32 v13, v11
	s_or_b64 s[16:17], vcc, s[16:17]
	v_mov_b32_e32 v12, v10
	s_andn2_b64 exec, exec, s[16:17]
	s_cbranch_execnz .LBB3_432
	s_branch .LBB3_343
.LBB3_433:
	s_mov_b64 s[4:5], 0
	s_branch .LBB3_435
.LBB3_434:
	s_mov_b64 s[4:5], -1
.LBB3_435:
	v_mov_b32_e32 v57, v1
	v_mov_b32_e32 v58, v0
	s_and_b64 vcc, exec, s[4:5]
	s_cbranch_vccz .LBB3_462
; %bb.436:
	v_readfirstlane_b32 s4, v32
	v_mov_b32_e32 v0, 0
	v_mov_b32_e32 v1, 0
	v_cmp_eq_u32_e64 s[4:5], s4, v32
	s_and_saveexec_b64 s[10:11], s[4:5]
	s_cbranch_execz .LBB3_442
; %bb.437:
	v_mov_b32_e32 v4, 0
	global_load_dwordx2 v[7:8], v4, s[6:7] offset:24 glc
	s_waitcnt vmcnt(0)
	buffer_wbinvl1_vol
	global_load_dwordx2 v[0:1], v4, s[6:7] offset:40
	global_load_dwordx2 v[5:6], v4, s[6:7]
	s_waitcnt vmcnt(1)
	v_and_b32_e32 v0, v0, v7
	v_and_b32_e32 v1, v1, v8
	v_mul_lo_u32 v1, v1, 24
	v_mul_hi_u32 v9, v0, 24
	v_mul_lo_u32 v0, v0, 24
	v_add_u32_e32 v1, v9, v1
	s_waitcnt vmcnt(0)
	v_add_co_u32_e32 v0, vcc, v5, v0
	v_addc_co_u32_e32 v1, vcc, v6, v1, vcc
	global_load_dwordx2 v[5:6], v[0:1], off glc
	s_waitcnt vmcnt(0)
	global_atomic_cmpswap_x2 v[0:1], v4, v[5:8], s[6:7] offset:24 glc
	s_waitcnt vmcnt(0)
	buffer_wbinvl1_vol
	v_cmp_ne_u64_e32 vcc, v[0:1], v[7:8]
	s_and_saveexec_b64 s[12:13], vcc
	s_cbranch_execz .LBB3_441
; %bb.438:
	s_mov_b64 s[14:15], 0
.LBB3_439:                              ; =>This Inner Loop Header: Depth=1
	s_sleep 1
	global_load_dwordx2 v[5:6], v4, s[6:7] offset:40
	global_load_dwordx2 v[9:10], v4, s[6:7]
	v_mov_b32_e32 v8, v1
	v_mov_b32_e32 v7, v0
	s_waitcnt vmcnt(1)
	v_and_b32_e32 v0, v5, v7
	s_waitcnt vmcnt(0)
	v_mad_u64_u32 v[0:1], s[16:17], v0, 24, v[9:10]
	v_and_b32_e32 v5, v6, v8
	v_mad_u64_u32 v[5:6], s[16:17], v5, 24, v[1:2]
	v_mov_b32_e32 v1, v5
	global_load_dwordx2 v[5:6], v[0:1], off glc
	s_waitcnt vmcnt(0)
	global_atomic_cmpswap_x2 v[0:1], v4, v[5:8], s[6:7] offset:24 glc
	s_waitcnt vmcnt(0)
	buffer_wbinvl1_vol
	v_cmp_eq_u64_e32 vcc, v[0:1], v[7:8]
	s_or_b64 s[14:15], vcc, s[14:15]
	s_andn2_b64 exec, exec, s[14:15]
	s_cbranch_execnz .LBB3_439
; %bb.440:
	s_or_b64 exec, exec, s[14:15]
.LBB3_441:
	s_or_b64 exec, exec, s[12:13]
.LBB3_442:
	s_or_b64 exec, exec, s[10:11]
	v_mov_b32_e32 v4, 0
	global_load_dwordx2 v[10:11], v4, s[6:7] offset:40
	global_load_dwordx4 v[6:9], v4, s[6:7]
	v_readfirstlane_b32 s11, v1
	v_readfirstlane_b32 s10, v0
	s_mov_b64 s[12:13], exec
	s_waitcnt vmcnt(1)
	v_readfirstlane_b32 s14, v10
	v_readfirstlane_b32 s15, v11
	s_and_b64 s[14:15], s[14:15], s[10:11]
	s_mul_i32 s16, s15, 24
	s_mul_hi_u32 s17, s14, 24
	s_mul_i32 s18, s14, 24
	s_add_i32 s16, s17, s16
	v_mov_b32_e32 v0, s16
	s_waitcnt vmcnt(0)
	v_add_co_u32_e32 v10, vcc, s18, v6
	v_addc_co_u32_e32 v11, vcc, v7, v0, vcc
	s_and_saveexec_b64 s[16:17], s[4:5]
	s_cbranch_execz .LBB3_444
; %bb.443:
	v_mov_b32_e32 v12, s12
	v_mov_b32_e32 v13, s13
	;; [unrolled: 1-line block ×4, first 2 shown]
	global_store_dwordx4 v[10:11], v[12:15], off offset:8
.LBB3_444:
	s_or_b64 exec, exec, s[16:17]
	s_lshl_b64 s[12:13], s[14:15], 12
	v_mov_b32_e32 v0, s13
	v_add_co_u32_e32 v1, vcc, s12, v8
	v_addc_co_u32_e32 v0, vcc, v9, v0, vcc
	s_movk_i32 s12, 0xff1d
	v_and_or_b32 v2, v2, s12, 34
	s_mov_b32 s12, 0
	v_mov_b32_e32 v5, v4
	v_readfirstlane_b32 s16, v1
	v_readfirstlane_b32 s17, v0
	s_mov_b32 s13, s12
	s_mov_b32 s14, s12
	;; [unrolled: 1-line block ×3, first 2 shown]
	s_nop 1
	global_store_dwordx4 v31, v[2:5], s[16:17]
	v_mov_b32_e32 v0, s12
	v_mov_b32_e32 v1, s13
	;; [unrolled: 1-line block ×4, first 2 shown]
	global_store_dwordx4 v31, v[0:3], s[16:17] offset:16
	global_store_dwordx4 v31, v[0:3], s[16:17] offset:32
	global_store_dwordx4 v31, v[0:3], s[16:17] offset:48
	s_and_saveexec_b64 s[12:13], s[4:5]
	s_cbranch_execz .LBB3_452
; %bb.445:
	v_mov_b32_e32 v8, 0
	global_load_dwordx2 v[14:15], v8, s[6:7] offset:32 glc
	global_load_dwordx2 v[0:1], v8, s[6:7] offset:40
	v_mov_b32_e32 v12, s10
	v_mov_b32_e32 v13, s11
	s_waitcnt vmcnt(0)
	v_readfirstlane_b32 s14, v0
	v_readfirstlane_b32 s15, v1
	s_and_b64 s[14:15], s[14:15], s[10:11]
	s_mul_i32 s15, s15, 24
	s_mul_hi_u32 s16, s14, 24
	s_mul_i32 s14, s14, 24
	s_add_i32 s15, s16, s15
	v_mov_b32_e32 v0, s15
	v_add_co_u32_e32 v4, vcc, s14, v6
	v_addc_co_u32_e32 v5, vcc, v7, v0, vcc
	global_store_dwordx2 v[4:5], v[14:15], off
	s_waitcnt vmcnt(0)
	global_atomic_cmpswap_x2 v[2:3], v8, v[12:15], s[6:7] offset:32 glc
	s_waitcnt vmcnt(0)
	v_cmp_ne_u64_e32 vcc, v[2:3], v[14:15]
	s_and_saveexec_b64 s[14:15], vcc
	s_cbranch_execz .LBB3_448
; %bb.446:
	s_mov_b64 s[16:17], 0
.LBB3_447:                              ; =>This Inner Loop Header: Depth=1
	s_sleep 1
	global_store_dwordx2 v[4:5], v[2:3], off
	v_mov_b32_e32 v0, s10
	v_mov_b32_e32 v1, s11
	s_waitcnt vmcnt(0)
	global_atomic_cmpswap_x2 v[0:1], v8, v[0:3], s[6:7] offset:32 glc
	s_waitcnt vmcnt(0)
	v_cmp_eq_u64_e32 vcc, v[0:1], v[2:3]
	v_mov_b32_e32 v3, v1
	s_or_b64 s[16:17], vcc, s[16:17]
	v_mov_b32_e32 v2, v0
	s_andn2_b64 exec, exec, s[16:17]
	s_cbranch_execnz .LBB3_447
.LBB3_448:
	s_or_b64 exec, exec, s[14:15]
	v_mov_b32_e32 v3, 0
	global_load_dwordx2 v[0:1], v3, s[6:7] offset:16
	s_mov_b64 s[14:15], exec
	v_mbcnt_lo_u32_b32 v2, s14, 0
	v_mbcnt_hi_u32_b32 v2, s15, v2
	v_cmp_eq_u32_e32 vcc, 0, v2
	s_and_saveexec_b64 s[16:17], vcc
	s_cbranch_execz .LBB3_450
; %bb.449:
	s_bcnt1_i32_b64 s14, s[14:15]
	v_mov_b32_e32 v2, s14
	s_waitcnt vmcnt(0)
	global_atomic_add_x2 v[0:1], v[2:3], off offset:8
.LBB3_450:
	s_or_b64 exec, exec, s[16:17]
	s_waitcnt vmcnt(0)
	global_load_dwordx2 v[2:3], v[0:1], off offset:16
	s_waitcnt vmcnt(0)
	v_cmp_eq_u64_e32 vcc, 0, v[2:3]
	s_cbranch_vccnz .LBB3_452
; %bb.451:
	global_load_dword v0, v[0:1], off offset:24
	v_mov_b32_e32 v1, 0
	s_waitcnt vmcnt(0)
	v_readfirstlane_b32 s14, v0
	s_and_b32 m0, s14, 0xffffff
	global_store_dwordx2 v[2:3], v[0:1], off
	s_sendmsg sendmsg(MSG_INTERRUPT)
.LBB3_452:
	s_or_b64 exec, exec, s[12:13]
	s_branch .LBB3_456
.LBB3_453:                              ;   in Loop: Header=BB3_456 Depth=1
	s_or_b64 exec, exec, s[12:13]
	v_readfirstlane_b32 s12, v0
	s_cmp_eq_u32 s12, 0
	s_cbranch_scc1 .LBB3_455
; %bb.454:                              ;   in Loop: Header=BB3_456 Depth=1
	s_sleep 1
	s_cbranch_execnz .LBB3_456
	s_branch .LBB3_458
.LBB3_455:
	s_branch .LBB3_458
.LBB3_456:                              ; =>This Inner Loop Header: Depth=1
	v_mov_b32_e32 v0, 1
	s_and_saveexec_b64 s[12:13], s[4:5]
	s_cbranch_execz .LBB3_453
; %bb.457:                              ;   in Loop: Header=BB3_456 Depth=1
	global_load_dword v0, v[10:11], off offset:20 glc
	s_waitcnt vmcnt(0)
	buffer_wbinvl1_vol
	v_and_b32_e32 v0, 1, v0
	s_branch .LBB3_453
.LBB3_458:
	s_and_saveexec_b64 s[12:13], s[4:5]
	s_cbranch_execz .LBB3_461
; %bb.459:
	v_mov_b32_e32 v6, 0
	global_load_dwordx2 v[0:1], v6, s[6:7] offset:40
	global_load_dwordx2 v[9:10], v6, s[6:7] offset:24 glc
	global_load_dwordx2 v[2:3], v6, s[6:7]
	s_waitcnt vmcnt(2)
	v_readfirstlane_b32 s14, v0
	v_readfirstlane_b32 s15, v1
	s_add_u32 s16, s14, 1
	s_addc_u32 s17, s15, 0
	s_add_u32 s4, s16, s10
	s_addc_u32 s5, s17, s11
	s_cmp_eq_u64 s[4:5], 0
	s_cselect_b32 s5, s17, s5
	s_cselect_b32 s4, s16, s4
	s_and_b64 s[10:11], s[4:5], s[14:15]
	s_mul_i32 s11, s11, 24
	s_mul_hi_u32 s14, s10, 24
	s_mul_i32 s10, s10, 24
	s_add_i32 s11, s14, s11
	v_mov_b32_e32 v0, s11
	s_waitcnt vmcnt(0)
	v_add_co_u32_e32 v4, vcc, s10, v2
	v_addc_co_u32_e32 v5, vcc, v3, v0, vcc
	v_mov_b32_e32 v7, s4
	global_store_dwordx2 v[4:5], v[9:10], off
	v_mov_b32_e32 v8, s5
	s_waitcnt vmcnt(0)
	global_atomic_cmpswap_x2 v[2:3], v6, v[7:10], s[6:7] offset:24 glc
	s_mov_b64 s[10:11], 0
	s_waitcnt vmcnt(0)
	v_cmp_ne_u64_e32 vcc, v[2:3], v[9:10]
	s_and_b64 exec, exec, vcc
	s_cbranch_execz .LBB3_461
.LBB3_460:                              ; =>This Inner Loop Header: Depth=1
	s_sleep 1
	global_store_dwordx2 v[4:5], v[2:3], off
	v_mov_b32_e32 v0, s4
	v_mov_b32_e32 v1, s5
	s_waitcnt vmcnt(0)
	global_atomic_cmpswap_x2 v[0:1], v6, v[0:3], s[6:7] offset:24 glc
	s_waitcnt vmcnt(0)
	v_cmp_eq_u64_e32 vcc, v[0:1], v[2:3]
	v_mov_b32_e32 v3, v1
	s_or_b64 s[10:11], vcc, s[10:11]
	v_mov_b32_e32 v2, v0
	s_andn2_b64 exec, exec, s[10:11]
	s_cbranch_execnz .LBB3_460
.LBB3_461:
	s_or_b64 exec, exec, s[12:13]
.LBB3_462:
	s_getpc_b64 s[4:5]
	s_add_u32 s4, s4, .str.29@rel32@lo+4
	s_addc_u32 s5, s5, .str.29@rel32@hi+12
	s_getpc_b64 s[6:7]
	s_add_u32 s6, s6, .str.19@rel32@lo+4
	s_addc_u32 s7, s7, .str.19@rel32@hi+12
	s_getpc_b64 s[10:11]
	s_add_u32 s10, s10, __PRETTY_FUNCTION__._ZN7VecsMemIjLi8192EE5fetchEi@rel32@lo+4
	s_addc_u32 s11, s11, __PRETTY_FUNCTION__._ZN7VecsMemIjLi8192EE5fetchEi@rel32@hi+12
	s_getpc_b64 s[12:13]
	s_add_u32 s12, s12, __assert_fail@rel32@lo+4
	s_addc_u32 s13, s13, __assert_fail@rel32@hi+12
	v_mov_b32_e32 v0, s4
	v_mov_b32_e32 v1, s5
	s_waitcnt vmcnt(0)
	v_mov_b32_e32 v2, s6
	v_mov_b32_e32 v3, s7
	;; [unrolled: 1-line block ×5, first 2 shown]
	s_swappc_b64 s[30:31], s[12:13]
	s_or_b64 s[4:5], s[52:53], exec
	v_mov_b32_e32 v0, v58
	v_mov_b32_e32 v1, v57
.LBB3_463:
	s_or_b64 exec, exec, s[40:41]
	s_andn2_b64 s[6:7], s[52:53], exec
	s_and_b64 s[4:5], s[4:5], exec
	s_or_b64 s[40:41], s[6:7], s[4:5]
	s_orn2_b64 s[4:5], s[28:29], exec
.LBB3_464:
	s_or_b64 exec, exec, s[26:27]
	s_mov_b64 s[6:7], 0
	s_and_saveexec_b64 s[26:27], s[4:5]
	s_mov_b64 s[8:9], s[34:35]
	s_cbranch_execz .LBB3_497
; %bb.465:
	v_cmp_ne_u64_e32 vcc, 0, v[53:54]
	s_mov_b64 s[42:43], 0
	s_mov_b64 s[44:45], s[40:41]
	flat_store_dwordx2 v[60:61], v[53:54] offset:8
	s_and_saveexec_b64 s[4:5], vcc
	s_xor_b64 s[28:29], exec, s[4:5]
	s_cbranch_execz .LBB3_494
; %bb.466:
	v_mov_b32_e32 v2, 0
	v_lshlrev_b32_e32 v6, 1, v47
	v_cmp_lt_i32_e32 vcc, 0, v56
	s_mov_b64 s[4:5], exec
	buffer_load_dword v14, off, s[0:3], s33 offset:104 ; 4-byte Folded Reload
	buffer_load_dword v15, off, s[0:3], s33 offset:108 ; 4-byte Folded Reload
	s_and_b64 s[6:7], s[4:5], vcc
	s_mov_b64 exec, s[6:7]
	s_cbranch_execnz .LBB3_469
; %bb.467:
	s_or_b64 exec, exec, s[4:5]
	v_cmp_lt_i32_e32 vcc, 0, v45
	s_and_saveexec_b64 s[4:5], vcc
	s_cbranch_execnz .LBB3_472
.LBB3_468:
	s_or_b64 exec, exec, s[4:5]
	v_cmp_lt_i32_e32 vcc, 0, v55
	s_and_saveexec_b64 s[4:5], vcc
	s_cbranch_execnz .LBB3_475
	s_branch .LBB3_478
.LBB3_469:
	buffer_load_dword v2, off, s[0:3], s33 offset:64
	buffer_load_dword v3, off, s[0:3], s33 offset:68
	v_mov_b32_e32 v4, v53
	v_lshlrev_b32_e64 v7, v6, 1
	s_mov_b64 s[6:7], 0
	v_mov_b32_e32 v5, v54
	v_mov_b32_e32 v8, v56
.LBB3_470:                              ; =>This Inner Loop Header: Depth=1
	s_waitcnt vmcnt(0)
	flat_load_dword v9, v[2:3]
	v_add_co_u32_e32 v2, vcc, 4, v2
	v_add_u32_e32 v8, -1, v8
	v_addc_co_u32_e32 v3, vcc, 0, v3, vcc
	v_cmp_eq_u32_e32 vcc, 0, v8
	s_or_b64 s[6:7], vcc, s[6:7]
	s_waitcnt vmcnt(0) lgkmcnt(0)
	v_or_b32_e32 v9, v9, v7
	flat_store_dword v[4:5], v9
	v_add_co_u32_e32 v4, vcc, 4, v4
	v_addc_co_u32_e32 v5, vcc, 0, v5, vcc
	s_andn2_b64 exec, exec, s[6:7]
	s_cbranch_execnz .LBB3_470
; %bb.471:
	s_or_b64 exec, exec, s[6:7]
	v_mov_b32_e32 v2, v56
	s_or_b64 exec, exec, s[4:5]
	v_cmp_lt_i32_e32 vcc, 0, v45
	s_and_saveexec_b64 s[4:5], vcc
	s_cbranch_execz .LBB3_468
.LBB3_472:
	buffer_load_dword v4, off, s[0:3], s33 offset:80
	buffer_load_dword v5, off, s[0:3], s33 offset:84
	v_mov_b32_e32 v3, 0
	v_lshlrev_b32_e64 v8, v6, 2
	v_lshlrev_b64 v[6:7], 2, v[2:3]
	v_add_u32_e32 v2, v45, v2
	v_add_co_u32_e32 v6, vcc, v53, v6
	v_addc_co_u32_e32 v7, vcc, v54, v7, vcc
	s_mov_b64 s[6:7], 0
.LBB3_473:                              ; =>This Inner Loop Header: Depth=1
	s_waitcnt vmcnt(0)
	flat_load_dword v3, v[4:5]
	v_add_co_u32_e32 v4, vcc, 4, v4
	v_add_u32_e32 v45, -1, v45
	v_addc_co_u32_e32 v5, vcc, 0, v5, vcc
	v_cmp_eq_u32_e32 vcc, 0, v45
	s_or_b64 s[6:7], vcc, s[6:7]
	s_waitcnt vmcnt(0) lgkmcnt(0)
	v_or_b32_e32 v3, v3, v8
	flat_store_dword v[6:7], v3
	v_add_co_u32_e32 v6, vcc, 4, v6
	v_addc_co_u32_e32 v7, vcc, 0, v7, vcc
	s_andn2_b64 exec, exec, s[6:7]
	s_cbranch_execnz .LBB3_473
; %bb.474:
	s_or_b64 exec, exec, s[6:7]
	s_or_b64 exec, exec, s[4:5]
	v_cmp_lt_i32_e32 vcc, 0, v55
	s_and_saveexec_b64 s[4:5], vcc
	s_cbranch_execz .LBB3_478
.LBB3_475:
	buffer_load_dword v4, off, s[0:3], s33 offset:96
	buffer_load_dword v5, off, s[0:3], s33 offset:100
	v_mov_b32_e32 v3, 0
	v_lshlrev_b64 v[6:7], 2, v[2:3]
	v_add_u32_e32 v2, v2, v55
	v_add_co_u32_e32 v6, vcc, v53, v6
	v_addc_co_u32_e32 v7, vcc, v54, v7, vcc
	s_mov_b64 s[6:7], 0
.LBB3_476:                              ; =>This Inner Loop Header: Depth=1
	s_waitcnt vmcnt(0)
	flat_load_dword v3, v[4:5]
	v_add_co_u32_e32 v4, vcc, 4, v4
	v_add_u32_e32 v55, -1, v55
	v_addc_co_u32_e32 v5, vcc, 0, v5, vcc
	v_cmp_eq_u32_e32 vcc, 0, v55
	s_or_b64 s[6:7], vcc, s[6:7]
	s_waitcnt vmcnt(0) lgkmcnt(0)
	flat_store_dword v[6:7], v3
	v_add_co_u32_e32 v6, vcc, 4, v6
	v_addc_co_u32_e32 v7, vcc, 0, v7, vcc
	s_andn2_b64 exec, exec, s[6:7]
	s_cbranch_execnz .LBB3_476
; %bb.477:
	s_or_b64 exec, exec, s[6:7]
.LBB3_478:
	s_or_b64 exec, exec, s[4:5]
	flat_load_dword v3, v[60:61] offset:4
	s_mov_b64 s[6:7], s[40:41]
	s_waitcnt vmcnt(0) lgkmcnt(0)
	v_cmp_ne_u32_e32 vcc, v2, v3
	s_and_saveexec_b64 s[4:5], vcc
	s_xor_b64 s[42:43], exec, s[4:5]
	s_cbranch_execz .LBB3_480
; %bb.479:
	s_getpc_b64 s[4:5]
	s_add_u32 s4, s4, .str.23@rel32@lo+4
	s_addc_u32 s5, s5, .str.23@rel32@hi+12
	s_getpc_b64 s[6:7]
	s_add_u32 s6, s6, .str.16@rel32@lo+4
	s_addc_u32 s7, s7, .str.16@rel32@hi+12
	s_getpc_b64 s[10:11]
	s_add_u32 s10, s10, __PRETTY_FUNCTION__._ZN3sop13minatoIsopRecEPKjS1_iPNS_3SopEP7VecsMemIjLi8192EE@rel32@lo+4
	s_addc_u32 s11, s11, __PRETTY_FUNCTION__._ZN3sop13minatoIsopRecEPKjS1_iPNS_3SopEP7VecsMemIjLi8192EE@rel32@hi+12
	s_getpc_b64 s[12:13]
	s_add_u32 s12, s12, __assert_fail@rel32@lo+4
	s_addc_u32 s13, s13, __assert_fail@rel32@hi+12
	s_mov_b64 s[8:9], s[34:35]
	v_mov_b32_e32 v0, s4
	v_mov_b32_e32 v1, s5
	;; [unrolled: 1-line block ×7, first 2 shown]
	s_swappc_b64 s[30:31], s[12:13]
                                        ; implicit-def: $vgpr0
                                        ; kill: killed $vgpr0
	s_mov_b64 s[8:9], s[34:35]
                                        ; implicit-def: $vgpr0_vgpr1
                                        ; kill: killed $vgpr0_vgpr1
	s_or_b64 s[6:7], s[40:41], exec
                                        ; implicit-def: $vgpr0
                                        ; kill: killed $vgpr0
                                        ; implicit-def: $vgpr59
                                        ; implicit-def: $vgpr1
                                        ; implicit-def: $vgpr14_vgpr15
                                        ; implicit-def: $vgpr0
                                        ; kill: killed $vgpr0
                                        ; implicit-def: $vgpr0
                                        ; kill: killed $vgpr0
                                        ; implicit-def: $vgpr0
.LBB3_480:
	s_or_saveexec_b64 s[10:11], s[42:43]
	s_mov_b64 s[4:5], 0
	s_xor_b64 exec, exec, s[10:11]
	s_cbranch_execz .LBB3_493
; %bb.481:
	s_and_saveexec_b64 s[4:5], s[36:37]
	s_cbranch_execz .LBB3_486
; %bb.482:
	buffer_load_dword v2, off, s[0:3], s33 offset:112 ; 4-byte Folded Reload
	buffer_load_dword v3, off, s[0:3], s33 offset:116 ; 4-byte Folded Reload
	;; [unrolled: 1-line block ×4, first 2 shown]
	s_waitcnt vmcnt(2)
	v_mov_b32_e32 v3, 0
	s_mov_b64 s[12:13], 0
	v_add_u32_e32 v10, 1, v2
	v_add_u32_e32 v2, -1, v2
	v_lshlrev_b64 v[2:3], 2, v[2:3]
	v_mov_b32_e32 v11, v10
	v_add_co_u32_e32 v4, vcc, v41, v2
	v_addc_co_u32_e32 v5, vcc, v42, v3, vcc
	v_add_co_u32_e32 v0, vcc, v0, v2
	v_addc_co_u32_e32 v1, vcc, v1, v3, vcc
	s_waitcnt vmcnt(1)
	v_add_co_u32_e32 v6, vcc, v6, v2
	v_mov_b32_e32 v9, v1
	s_waitcnt vmcnt(0)
	v_addc_co_u32_e32 v7, vcc, v7, v3, vcc
	v_mov_b32_e32 v8, v0
.LBB3_483:                              ; =>This Inner Loop Header: Depth=1
	flat_load_dword v12, v[6:7]
	flat_load_dword v13, v[8:9]
	v_add_co_u32_e32 v8, vcc, -4, v8
	v_addc_co_u32_e32 v9, vcc, -1, v9, vcc
	v_add_co_u32_e32 v6, vcc, -4, v6
	v_add_u32_e32 v11, -1, v11
	v_addc_co_u32_e32 v7, vcc, -1, v7, vcc
	v_cmp_gt_u32_e32 vcc, 2, v11
	s_or_b64 s[12:13], vcc, s[12:13]
	s_waitcnt vmcnt(0) lgkmcnt(0)
	v_or_b32_e32 v12, v13, v12
	flat_store_dword v[4:5], v12
	v_add_co_u32_e32 v4, vcc, -4, v4
	v_addc_co_u32_e32 v5, vcc, -1, v5, vcc
	s_andn2_b64 exec, exec, s[12:13]
	s_cbranch_execnz .LBB3_483
; %bb.484:
	s_or_b64 exec, exec, s[12:13]
	buffer_load_dword v6, off, s[0:3], s33 offset:120 ; 4-byte Folded Reload
	v_add_co_u32_e32 v4, vcc, v14, v2
	v_addc_co_u32_e32 v5, vcc, v15, v3, vcc
	v_add_co_u32_e32 v4, vcc, v41, v4
	v_addc_co_u32_e32 v5, vcc, v42, v5, vcc
	v_add_co_u32_e32 v2, vcc, v59, v2
	s_mov_b64 s[12:13], 0
	s_waitcnt vmcnt(0)
	v_addc_co_u32_e32 v3, vcc, v6, v3, vcc
.LBB3_485:                              ; =>This Inner Loop Header: Depth=1
	flat_load_dword v6, v[2:3]
	flat_load_dword v7, v[0:1]
	v_add_co_u32_e32 v0, vcc, -4, v0
	v_addc_co_u32_e32 v1, vcc, -1, v1, vcc
	v_add_co_u32_e32 v2, vcc, -4, v2
	v_add_u32_e32 v10, -1, v10
	v_addc_co_u32_e32 v3, vcc, -1, v3, vcc
	v_cmp_gt_u32_e32 vcc, 2, v10
	s_or_b64 s[12:13], vcc, s[12:13]
	s_waitcnt vmcnt(0) lgkmcnt(0)
	v_or_b32_e32 v6, v7, v6
	flat_store_dword v[4:5], v6
	v_add_co_u32_e32 v4, vcc, -4, v4
	v_addc_co_u32_e32 v5, vcc, -1, v5, vcc
	s_andn2_b64 exec, exec, s[12:13]
	s_cbranch_execnz .LBB3_485
.LBB3_486:
	s_or_b64 exec, exec, s[4:5]
	buffer_load_dword v0, off, s[0:3], s33 offset:132 ; 4-byte Folded Reload
	v_ashrrev_i32_e32 v4, 31, v46
	v_add_u32_e32 v5, v46, v4
	v_xor_b32_e32 v5, v5, v4
	s_mov_b32 s20, 1
	s_waitcnt vmcnt(0)
	v_lshlrev_b32_e64 v6, v0, 2
	v_ashrrev_i32_e32 v0, 31, v6
	v_add_u32_e32 v1, v6, v0
	v_xor_b32_e32 v1, v1, v0
	v_cvt_f32_u32_e32 v2, v1
	v_sub_u32_e32 v3, 0, v1
	v_xor_b32_e32 v0, v4, v0
	v_rcp_iflag_f32_e32 v2, v2
	v_mul_f32_e32 v2, 0x4f7ffffe, v2
	v_cvt_u32_f32_e32 v2, v2
	v_mul_lo_u32 v3, v3, v2
	v_mul_hi_u32 v3, v2, v3
	v_add_u32_e32 v2, v2, v3
	v_mul_hi_u32 v2, v5, v2
	v_mul_lo_u32 v3, v2, v1
	v_add_u32_e32 v7, 1, v2
	v_sub_u32_e32 v3, v5, v3
	v_sub_u32_e32 v5, v3, v1
	v_cmp_ge_u32_e32 vcc, v3, v1
	v_cndmask_b32_e32 v3, v3, v5, vcc
	v_cndmask_b32_e32 v2, v2, v7, vcc
	v_add_u32_e32 v5, 1, v2
	v_cmp_ge_u32_e32 vcc, v3, v1
	v_cndmask_b32_e32 v1, v2, v5, vcc
	v_xor_b32_e32 v1, v1, v0
	v_sub_u32_e32 v7, v1, v0
	v_cmp_lt_i32_e32 vcc, 1, v7
	s_and_saveexec_b64 s[12:13], vcc
	s_cbranch_execz .LBB3_492
; %bb.487:
	v_cmp_lt_i32_e32 vcc, 0, v6
	s_mov_b64 s[14:15], 0
	v_mov_b32_e32 v1, 0
	v_mov_b32_e32 v0, v6
	s_branch .LBB3_489
.LBB3_488:                              ;   in Loop: Header=BB3_489 Depth=1
	s_or_b64 exec, exec, s[16:17]
	s_add_i32 s20, s20, 1
	v_cmp_eq_u32_e64 s[4:5], s20, v7
	s_or_b64 s[14:15], s[4:5], s[14:15]
	v_add_u32_e32 v0, v0, v6
	s_andn2_b64 exec, exec, s[14:15]
	s_cbranch_execz .LBB3_492
.LBB3_489:                              ; =>This Loop Header: Depth=1
                                        ;     Child Loop BB3_491 Depth 2
	s_and_saveexec_b64 s[16:17], vcc
	s_cbranch_execz .LBB3_488
; %bb.490:                              ;   in Loop: Header=BB3_489 Depth=1
	v_lshlrev_b64 v[2:3], 2, v[0:1]
	v_mov_b32_e32 v4, v41
	s_mov_b64 s[18:19], 0
	v_mov_b32_e32 v5, v42
	v_mov_b32_e32 v8, v6
.LBB3_491:                              ;   Parent Loop BB3_489 Depth=1
                                        ; =>  This Inner Loop Header: Depth=2
	flat_load_dword v11, v[4:5]
	v_add_co_u32_e64 v9, s[4:5], v4, v2
	v_addc_co_u32_e64 v10, s[4:5], v5, v3, s[4:5]
	v_add_co_u32_e64 v4, s[4:5], 4, v4
	v_add_u32_e32 v8, -1, v8
	v_addc_co_u32_e64 v5, s[4:5], 0, v5, s[4:5]
	v_cmp_eq_u32_e64 s[4:5], 0, v8
	s_or_b64 s[18:19], s[4:5], s[18:19]
	s_waitcnt vmcnt(0) lgkmcnt(0)
	flat_store_dword v[9:10], v11
	s_andn2_b64 exec, exec, s[18:19]
	s_cbranch_execnz .LBB3_491
	s_branch .LBB3_488
.LBB3_492:
	s_or_b64 exec, exec, s[12:13]
	s_mov_b64 s[4:5], exec
.LBB3_493:
	s_or_b64 exec, exec, s[10:11]
	s_andn2_b64 s[10:11], s[40:41], exec
	s_and_b64 s[6:7], s[6:7], exec
	s_or_b64 s[44:45], s[10:11], s[6:7]
	s_and_b64 s[42:43], s[4:5], exec
.LBB3_494:
	s_andn2_saveexec_b64 s[28:29], s[28:29]
	s_cbranch_execz .LBB3_496
; %bb.495:
	s_getpc_b64 s[4:5]
	s_add_u32 s4, s4, .str.20@rel32@lo+4
	s_addc_u32 s5, s5, .str.20@rel32@hi+12
	s_getpc_b64 s[6:7]
	s_add_u32 s6, s6, .str.16@rel32@lo+4
	s_addc_u32 s7, s7, .str.16@rel32@hi+12
	s_getpc_b64 s[10:11]
	s_add_u32 s10, s10, __PRETTY_FUNCTION__._ZN3sop13minatoIsopRecEPKjS1_iPNS_3SopEP7VecsMemIjLi8192EE@rel32@lo+4
	s_addc_u32 s11, s11, __PRETTY_FUNCTION__._ZN3sop13minatoIsopRecEPKjS1_iPNS_3SopEP7VecsMemIjLi8192EE@rel32@hi+12
	s_getpc_b64 s[12:13]
	s_add_u32 s12, s12, __assert_fail@rel32@lo+4
	s_addc_u32 s13, s13, __assert_fail@rel32@hi+12
	s_mov_b64 s[8:9], s[34:35]
	v_mov_b32_e32 v0, s4
	v_mov_b32_e32 v1, s5
	v_mov_b32_e32 v2, s6
	v_mov_b32_e32 v3, s7
	v_mov_b32_e32 v4, 0x97
	v_mov_b32_e32 v5, s10
	v_mov_b32_e32 v6, s11
	s_swappc_b64 s[30:31], s[12:13]
	s_mov_b64 s[8:9], s[34:35]
	s_or_b64 s[44:45], s[44:45], exec
.LBB3_496:
	s_or_b64 exec, exec, s[28:29]
	s_andn2_b64 s[4:5], s[40:41], exec
	s_and_b64 s[6:7], s[44:45], exec
	s_or_b64 s[40:41], s[4:5], s[6:7]
	s_and_b64 s[6:7], s[42:43], exec
.LBB3_497:
	s_or_b64 exec, exec, s[26:27]
	s_andn2_b64 s[4:5], s[52:53], exec
	s_and_b64 s[10:11], s[40:41], exec
	s_or_b64 s[96:97], s[4:5], s[10:11]
	s_and_b64 s[84:85], s[6:7], exec
                                        ; implicit-def: $vgpr58_vgpr59
                                        ; implicit-def: $vgpr56_vgpr57
                                        ; implicit-def: $vgpr60
                                        ; implicit-def: $vgpr53
.LBB3_498:
	s_andn2_saveexec_b64 s[82:83], s[38:39]
	s_cbranch_execz .LBB3_503
; %bb.499:
	flat_load_dword v0, v[58:59]
	flat_load_dword v1, v[56:57]
	v_writelane_b32 v62, s50, 6
	s_getpc_b64 s[4:5]
	s_add_u32 s4, s4, _ZN3sop14minatoIsop5RecEjjiPNS_3SopEP7VecsMemIjLi8192EE@rel32@lo+4
	s_addc_u32 s5, s5, _ZN3sop14minatoIsop5RecEjjiPNS_3SopEP7VecsMemIjLi8192EE@rel32@hi+12
	v_mov_b32_e32 v2, v53
	v_mov_b32_e32 v3, v60
	;; [unrolled: 1-line block ×5, first 2 shown]
	v_writelane_b32 v62, s51, 7
	s_mov_b64 s[98:99], s[8:9]
	s_swappc_b64 s[30:31], s[4:5]
	s_and_saveexec_b64 s[6:7], s[86:87]
	s_cbranch_execz .LBB3_502
; %bb.500:
	v_mov_b32_e32 v1, v41
	s_mov_b64 s[8:9], 0
	v_mov_b32_e32 v2, v42
.LBB3_501:                              ; =>This Inner Loop Header: Depth=1
	v_add_u32_e32 v46, -1, v46
	flat_store_dword v[1:2], v0
	v_add_co_u32_e32 v1, vcc, 4, v1
	v_cmp_eq_u32_e64 s[4:5], 0, v46
	s_or_b64 s[8:9], s[4:5], s[8:9]
	v_addc_co_u32_e32 v2, vcc, 0, v2, vcc
	s_andn2_b64 exec, exec, s[8:9]
	s_cbranch_execnz .LBB3_501
.LBB3_502:
	s_or_b64 exec, exec, s[6:7]
	v_readlane_b32 s50, v62, 6
	s_or_b64 s[84:85], s[84:85], exec
	s_mov_b64 s[8:9], s[98:99]
	v_readlane_b32 s51, v62, 7
.LBB3_503:
	s_or_b64 exec, exec, s[82:83]
	v_readlane_b32 s4, v62, 2
	v_readlane_b32 s5, v62, 3
	s_andn2_b64 s[4:5], s[4:5], exec
	s_and_b64 s[6:7], s[96:97], exec
	s_or_b64 s[96:97], s[4:5], s[6:7]
	s_and_b64 s[4:5], s[84:85], exec
.LBB3_504:
	v_readlane_b32 s6, v62, 4
	v_readlane_b32 s7, v62, 5
	s_or_b64 exec, exec, s[6:7]
	s_andn2_b64 s[6:7], s[68:69], exec
	s_and_b64 s[10:11], s[96:97], exec
	s_or_b64 s[40:41], s[6:7], s[10:11]
	s_and_b64 s[28:29], s[4:5], exec
                                        ; implicit-def: $vgpr60_vgpr61
                                        ; implicit-def: $vgpr43_vgpr44
                                        ; implicit-def: $vgpr46
.LBB3_505:
	v_readlane_b32 s4, v62, 0
	v_readlane_b32 s5, v62, 1
	s_andn2_saveexec_b64 s[42:43], s[4:5]
	s_cbranch_execz .LBB3_653
; %bb.506:
	v_mov_b32_e32 v0, 0
	v_mov_b32_e32 v1, 1
	flat_store_dwordx2 v[60:61], v[0:1]
	flat_load_dword v1, v[43:44]
	s_movk_i32 s4, 0x2000
	s_mov_b64 s[44:45], s[28:29]
	s_waitcnt vmcnt(0) lgkmcnt(0)
	v_cmp_gt_i32_e32 vcc, s4, v1
	s_and_saveexec_b64 s[4:5], vcc
	s_xor_b64 s[6:7], exec, s[4:5]
	s_cbranch_execz .LBB3_511
; %bb.507:
	v_add_u32_e32 v2, 1, v1
	flat_store_dword v[43:44], v2
	v_ashrrev_i32_e32 v2, 31, v1
	v_lshlrev_b64 v[1:2], 2, v[1:2]
	v_add_co_u32_e32 v1, vcc, v43, v1
	v_addc_co_u32_e32 v2, vcc, v44, v2, vcc
	v_add_co_u32_e32 v3, vcc, 4, v1
	v_addc_co_u32_e32 v4, vcc, 0, v2, vcc
	v_cmp_lt_i32_e32 vcc, 0, v46
	flat_store_dwordx2 v[60:61], v[3:4] offset:8
	flat_store_dword v[1:2], v0 offset:4
	s_and_saveexec_b64 s[10:11], vcc
	s_cbranch_execz .LBB3_510
; %bb.508:
	v_add_u32_e32 v3, -1, v46
	v_mov_b32_e32 v4, v0
	v_lshlrev_b64 v[0:1], 2, v[3:4]
	v_add_u32_e32 v2, 1, v46
	v_add_co_u32_e32 v0, vcc, v41, v0
	v_addc_co_u32_e32 v1, vcc, v42, v1, vcc
	s_mov_b64 s[12:13], 0
	v_mov_b32_e32 v3, -1
.LBB3_509:                              ; =>This Inner Loop Header: Depth=1
	v_add_u32_e32 v2, -1, v2
	flat_store_dword v[0:1], v3
	v_add_co_u32_e32 v0, vcc, -4, v0
	v_cmp_gt_u32_e64 s[4:5], 2, v2
	s_or_b64 s[12:13], s[4:5], s[12:13]
	v_addc_co_u32_e32 v1, vcc, -1, v1, vcc
	s_andn2_b64 exec, exec, s[12:13]
	s_cbranch_execnz .LBB3_509
.LBB3_510:
	s_or_b64 exec, exec, s[10:11]
	s_or_b64 s[44:45], s[28:29], exec
.LBB3_511:
	s_or_saveexec_b64 s[46:47], s[6:7]
	s_mov_b64 s[4:5], s[40:41]
	s_xor_b64 exec, exec, s[46:47]
	s_cbranch_execz .LBB3_652
; %bb.512:
	s_load_dwordx2 s[6:7], s[8:9], 0x50
	v_mbcnt_lo_u32_b32 v0, -1, 0
	v_mbcnt_hi_u32_b32 v30, -1, v0
	v_readfirstlane_b32 s4, v30
	v_mov_b32_e32 v5, 0
	v_mov_b32_e32 v6, 0
	v_cmp_eq_u32_e64 s[4:5], s4, v30
	s_and_saveexec_b64 s[10:11], s[4:5]
	s_cbranch_execz .LBB3_518
; %bb.513:
	v_mov_b32_e32 v0, 0
	s_waitcnt lgkmcnt(0)
	global_load_dwordx2 v[3:4], v0, s[6:7] offset:24 glc
	s_waitcnt vmcnt(0)
	buffer_wbinvl1_vol
	global_load_dwordx2 v[1:2], v0, s[6:7] offset:40
	global_load_dwordx2 v[5:6], v0, s[6:7]
	s_waitcnt vmcnt(1)
	v_and_b32_e32 v1, v1, v3
	v_and_b32_e32 v2, v2, v4
	v_mul_lo_u32 v2, v2, 24
	v_mul_hi_u32 v7, v1, 24
	v_mul_lo_u32 v1, v1, 24
	v_add_u32_e32 v2, v7, v2
	s_waitcnt vmcnt(0)
	v_add_co_u32_e32 v1, vcc, v5, v1
	v_addc_co_u32_e32 v2, vcc, v6, v2, vcc
	global_load_dwordx2 v[1:2], v[1:2], off glc
	s_waitcnt vmcnt(0)
	global_atomic_cmpswap_x2 v[5:6], v0, v[1:4], s[6:7] offset:24 glc
	s_waitcnt vmcnt(0)
	buffer_wbinvl1_vol
	v_cmp_ne_u64_e32 vcc, v[5:6], v[3:4]
	s_and_saveexec_b64 s[12:13], vcc
	s_cbranch_execz .LBB3_517
; %bb.514:
	s_mov_b64 s[14:15], 0
.LBB3_515:                              ; =>This Inner Loop Header: Depth=1
	s_sleep 1
	global_load_dwordx2 v[1:2], v0, s[6:7] offset:40
	global_load_dwordx2 v[7:8], v0, s[6:7]
	v_mov_b32_e32 v3, v5
	v_mov_b32_e32 v4, v6
	s_waitcnt vmcnt(1)
	v_and_b32_e32 v1, v1, v3
	s_waitcnt vmcnt(0)
	v_mad_u64_u32 v[5:6], s[16:17], v1, 24, v[7:8]
	v_and_b32_e32 v2, v2, v4
	v_mov_b32_e32 v1, v6
	v_mad_u64_u32 v[1:2], s[16:17], v2, 24, v[1:2]
	v_mov_b32_e32 v6, v1
	global_load_dwordx2 v[1:2], v[5:6], off glc
	s_waitcnt vmcnt(0)
	global_atomic_cmpswap_x2 v[5:6], v0, v[1:4], s[6:7] offset:24 glc
	s_waitcnt vmcnt(0)
	buffer_wbinvl1_vol
	v_cmp_eq_u64_e32 vcc, v[5:6], v[3:4]
	s_or_b64 s[14:15], vcc, s[14:15]
	s_andn2_b64 exec, exec, s[14:15]
	s_cbranch_execnz .LBB3_515
; %bb.516:
	s_or_b64 exec, exec, s[14:15]
.LBB3_517:
	s_or_b64 exec, exec, s[12:13]
.LBB3_518:
	s_or_b64 exec, exec, s[10:11]
	v_mov_b32_e32 v4, 0
	s_waitcnt lgkmcnt(0)
	global_load_dwordx2 v[7:8], v4, s[6:7] offset:40
	global_load_dwordx4 v[0:3], v4, s[6:7]
	v_readfirstlane_b32 s11, v6
	v_readfirstlane_b32 s10, v5
	s_mov_b64 s[12:13], exec
	s_waitcnt vmcnt(0)
	v_readfirstlane_b32 s14, v7
	v_readfirstlane_b32 s15, v8
	s_and_b64 s[14:15], s[14:15], s[10:11]
	s_mul_i32 s16, s15, 24
	s_mul_hi_u32 s17, s14, 24
	s_mul_i32 s18, s14, 24
	s_add_i32 s16, s17, s16
	v_mov_b32_e32 v5, s16
	v_add_co_u32_e32 v7, vcc, s18, v0
	v_addc_co_u32_e32 v8, vcc, v1, v5, vcc
	s_and_saveexec_b64 s[16:17], s[4:5]
	s_cbranch_execz .LBB3_520
; %bb.519:
	v_mov_b32_e32 v9, s12
	v_mov_b32_e32 v10, s13
	;; [unrolled: 1-line block ×4, first 2 shown]
	global_store_dwordx4 v[7:8], v[9:12], off offset:8
.LBB3_520:
	s_or_b64 exec, exec, s[16:17]
	s_lshl_b64 s[12:13], s[14:15], 12
	v_mov_b32_e32 v5, s13
	v_add_co_u32_e32 v2, vcc, s12, v2
	v_addc_co_u32_e32 v11, vcc, v3, v5, vcc
	v_lshlrev_b32_e32 v29, 6, v30
	s_mov_b32 s12, 0
	v_mov_b32_e32 v3, 33
	v_mov_b32_e32 v5, v4
	;; [unrolled: 1-line block ×3, first 2 shown]
	v_readfirstlane_b32 s16, v2
	v_readfirstlane_b32 s17, v11
	v_add_co_u32_e32 v9, vcc, v2, v29
	s_mov_b32 s13, s12
	s_mov_b32 s14, s12
	;; [unrolled: 1-line block ×3, first 2 shown]
	s_nop 0
	global_store_dwordx4 v29, v[3:6], s[16:17]
	v_mov_b32_e32 v2, s12
	v_addc_co_u32_e32 v10, vcc, 0, v11, vcc
	v_mov_b32_e32 v3, s13
	v_mov_b32_e32 v4, s14
	;; [unrolled: 1-line block ×3, first 2 shown]
	global_store_dwordx4 v29, v[2:5], s[16:17] offset:16
	global_store_dwordx4 v29, v[2:5], s[16:17] offset:32
	;; [unrolled: 1-line block ×3, first 2 shown]
	s_and_saveexec_b64 s[12:13], s[4:5]
	s_cbranch_execz .LBB3_528
; %bb.521:
	v_mov_b32_e32 v6, 0
	global_load_dwordx2 v[13:14], v6, s[6:7] offset:32 glc
	global_load_dwordx2 v[2:3], v6, s[6:7] offset:40
	v_mov_b32_e32 v11, s10
	v_mov_b32_e32 v12, s11
	s_waitcnt vmcnt(0)
	v_and_b32_e32 v2, s10, v2
	v_and_b32_e32 v3, s11, v3
	v_mul_lo_u32 v3, v3, 24
	v_mul_hi_u32 v4, v2, 24
	v_mul_lo_u32 v2, v2, 24
	v_add_u32_e32 v3, v4, v3
	v_add_co_u32_e32 v4, vcc, v0, v2
	v_addc_co_u32_e32 v5, vcc, v1, v3, vcc
	global_store_dwordx2 v[4:5], v[13:14], off
	s_waitcnt vmcnt(0)
	global_atomic_cmpswap_x2 v[2:3], v6, v[11:14], s[6:7] offset:32 glc
	s_waitcnt vmcnt(0)
	v_cmp_ne_u64_e32 vcc, v[2:3], v[13:14]
	s_and_saveexec_b64 s[14:15], vcc
	s_cbranch_execz .LBB3_524
; %bb.522:
	s_mov_b64 s[16:17], 0
.LBB3_523:                              ; =>This Inner Loop Header: Depth=1
	s_sleep 1
	global_store_dwordx2 v[4:5], v[2:3], off
	v_mov_b32_e32 v0, s10
	v_mov_b32_e32 v1, s11
	s_waitcnt vmcnt(0)
	global_atomic_cmpswap_x2 v[0:1], v6, v[0:3], s[6:7] offset:32 glc
	s_waitcnt vmcnt(0)
	v_cmp_eq_u64_e32 vcc, v[0:1], v[2:3]
	v_mov_b32_e32 v3, v1
	s_or_b64 s[16:17], vcc, s[16:17]
	v_mov_b32_e32 v2, v0
	s_andn2_b64 exec, exec, s[16:17]
	s_cbranch_execnz .LBB3_523
.LBB3_524:
	s_or_b64 exec, exec, s[14:15]
	v_mov_b32_e32 v3, 0
	global_load_dwordx2 v[0:1], v3, s[6:7] offset:16
	s_mov_b64 s[14:15], exec
	v_mbcnt_lo_u32_b32 v2, s14, 0
	v_mbcnt_hi_u32_b32 v2, s15, v2
	v_cmp_eq_u32_e32 vcc, 0, v2
	s_and_saveexec_b64 s[16:17], vcc
	s_cbranch_execz .LBB3_526
; %bb.525:
	s_bcnt1_i32_b64 s14, s[14:15]
	v_mov_b32_e32 v2, s14
	s_waitcnt vmcnt(0)
	global_atomic_add_x2 v[0:1], v[2:3], off offset:8
.LBB3_526:
	s_or_b64 exec, exec, s[16:17]
	s_waitcnt vmcnt(0)
	global_load_dwordx2 v[2:3], v[0:1], off offset:16
	s_waitcnt vmcnt(0)
	v_cmp_eq_u64_e32 vcc, 0, v[2:3]
	s_cbranch_vccnz .LBB3_528
; %bb.527:
	global_load_dword v0, v[0:1], off offset:24
	v_mov_b32_e32 v1, 0
	s_waitcnt vmcnt(0)
	v_readfirstlane_b32 s14, v0
	s_and_b32 m0, s14, 0xffffff
	global_store_dwordx2 v[2:3], v[0:1], off
	s_sendmsg sendmsg(MSG_INTERRUPT)
.LBB3_528:
	s_or_b64 exec, exec, s[12:13]
	s_branch .LBB3_532
.LBB3_529:                              ;   in Loop: Header=BB3_532 Depth=1
	s_or_b64 exec, exec, s[12:13]
	v_readfirstlane_b32 s12, v0
	s_cmp_eq_u32 s12, 0
	s_cbranch_scc1 .LBB3_531
; %bb.530:                              ;   in Loop: Header=BB3_532 Depth=1
	s_sleep 1
	s_cbranch_execnz .LBB3_532
	s_branch .LBB3_534
.LBB3_531:
	s_branch .LBB3_534
.LBB3_532:                              ; =>This Inner Loop Header: Depth=1
	v_mov_b32_e32 v0, 1
	s_and_saveexec_b64 s[12:13], s[4:5]
	s_cbranch_execz .LBB3_529
; %bb.533:                              ;   in Loop: Header=BB3_532 Depth=1
	global_load_dword v0, v[7:8], off offset:20 glc
	s_waitcnt vmcnt(0)
	buffer_wbinvl1_vol
	v_and_b32_e32 v0, 1, v0
	s_branch .LBB3_529
.LBB3_534:
	global_load_dwordx2 v[0:1], v[9:10], off
	s_and_saveexec_b64 s[12:13], s[4:5]
	s_cbranch_execz .LBB3_537
; %bb.535:
	v_mov_b32_e32 v8, 0
	global_load_dwordx2 v[2:3], v8, s[6:7] offset:40
	global_load_dwordx2 v[11:12], v8, s[6:7] offset:24 glc
	global_load_dwordx2 v[4:5], v8, s[6:7]
	s_waitcnt vmcnt(2)
	v_readfirstlane_b32 s14, v2
	v_readfirstlane_b32 s15, v3
	s_add_u32 s16, s14, 1
	s_addc_u32 s17, s15, 0
	s_add_u32 s4, s16, s10
	s_addc_u32 s5, s17, s11
	s_cmp_eq_u64 s[4:5], 0
	s_cselect_b32 s5, s17, s5
	s_cselect_b32 s4, s16, s4
	s_and_b64 s[10:11], s[4:5], s[14:15]
	s_mul_i32 s11, s11, 24
	s_mul_hi_u32 s14, s10, 24
	s_mul_i32 s10, s10, 24
	s_add_i32 s11, s14, s11
	v_mov_b32_e32 v2, s11
	s_waitcnt vmcnt(0)
	v_add_co_u32_e32 v6, vcc, s10, v4
	v_addc_co_u32_e32 v7, vcc, v5, v2, vcc
	v_mov_b32_e32 v9, s4
	global_store_dwordx2 v[6:7], v[11:12], off
	v_mov_b32_e32 v10, s5
	s_waitcnt vmcnt(0)
	global_atomic_cmpswap_x2 v[4:5], v8, v[9:12], s[6:7] offset:24 glc
	s_mov_b64 s[10:11], 0
	s_waitcnt vmcnt(0)
	v_cmp_ne_u64_e32 vcc, v[4:5], v[11:12]
	s_and_b64 exec, exec, vcc
	s_cbranch_execz .LBB3_537
.LBB3_536:                              ; =>This Inner Loop Header: Depth=1
	s_sleep 1
	global_store_dwordx2 v[6:7], v[4:5], off
	v_mov_b32_e32 v2, s4
	v_mov_b32_e32 v3, s5
	s_waitcnt vmcnt(0)
	global_atomic_cmpswap_x2 v[2:3], v8, v[2:5], s[6:7] offset:24 glc
	s_waitcnt vmcnt(0)
	v_cmp_eq_u64_e32 vcc, v[2:3], v[4:5]
	v_mov_b32_e32 v5, v3
	s_or_b64 s[10:11], vcc, s[10:11]
	v_mov_b32_e32 v4, v2
	s_andn2_b64 exec, exec, s[10:11]
	s_cbranch_execnz .LBB3_536
.LBB3_537:
	s_or_b64 exec, exec, s[12:13]
	s_getpc_b64 s[10:11]
	s_add_u32 s10, s10, .str.28@rel32@lo+4
	s_addc_u32 s11, s11, .str.28@rel32@hi+12
	s_cmp_lg_u64 s[10:11], 0
	s_cbranch_scc0 .LBB3_623
; %bb.538:
	s_waitcnt vmcnt(0)
	v_and_b32_e32 v6, -3, v0
	v_mov_b32_e32 v7, v1
	s_mov_b64 s[12:13], 35
	v_mov_b32_e32 v26, 0
	v_mov_b32_e32 v4, 2
	;; [unrolled: 1-line block ×3, first 2 shown]
	s_branch .LBB3_540
.LBB3_539:                              ;   in Loop: Header=BB3_540 Depth=1
	s_or_b64 exec, exec, s[18:19]
	s_sub_u32 s12, s12, s14
	s_subb_u32 s13, s13, s15
	s_add_u32 s10, s10, s14
	s_addc_u32 s11, s11, s15
	s_cmp_lg_u64 s[12:13], 0
	s_cbranch_scc0 .LBB3_622
.LBB3_540:                              ; =>This Loop Header: Depth=1
                                        ;     Child Loop BB3_543 Depth 2
                                        ;     Child Loop BB3_551 Depth 2
	;; [unrolled: 1-line block ×11, first 2 shown]
	v_cmp_lt_u64_e64 s[4:5], s[12:13], 56
	v_cmp_gt_u64_e64 s[16:17], s[12:13], 7
	s_and_b64 s[4:5], s[4:5], exec
	s_cselect_b32 s15, s13, 0
	s_cselect_b32 s14, s12, 56
	s_add_u32 s4, s10, 8
	s_addc_u32 s5, s11, 0
	s_and_b64 vcc, exec, s[16:17]
	s_cbranch_vccnz .LBB3_544
; %bb.541:                              ;   in Loop: Header=BB3_540 Depth=1
	s_cmp_eq_u64 s[12:13], 0
	s_cbranch_scc1 .LBB3_545
; %bb.542:                              ;   in Loop: Header=BB3_540 Depth=1
	s_waitcnt vmcnt(0)
	v_mov_b32_e32 v8, 0
	s_lshl_b64 s[4:5], s[14:15], 3
	s_mov_b64 s[16:17], 0
	v_mov_b32_e32 v9, 0
	s_mov_b64 s[18:19], s[10:11]
.LBB3_543:                              ;   Parent Loop BB3_540 Depth=1
                                        ; =>  This Inner Loop Header: Depth=2
	global_load_ubyte v2, v26, s[18:19]
	s_waitcnt vmcnt(0)
	v_and_b32_e32 v25, 0xffff, v2
	v_lshlrev_b64 v[2:3], s16, v[25:26]
	s_add_u32 s16, s16, 8
	s_addc_u32 s17, s17, 0
	s_add_u32 s18, s18, 1
	s_addc_u32 s19, s19, 0
	v_or_b32_e32 v8, v2, v8
	s_cmp_lg_u32 s4, s16
	v_or_b32_e32 v9, v3, v9
	s_cbranch_scc1 .LBB3_543
	s_branch .LBB3_546
.LBB3_544:                              ;   in Loop: Header=BB3_540 Depth=1
	s_mov_b32 s20, 0
	s_branch .LBB3_547
.LBB3_545:                              ;   in Loop: Header=BB3_540 Depth=1
	s_waitcnt vmcnt(0)
	v_mov_b32_e32 v8, 0
	v_mov_b32_e32 v9, 0
.LBB3_546:                              ;   in Loop: Header=BB3_540 Depth=1
	s_mov_b64 s[4:5], s[10:11]
	s_mov_b32 s20, 0
	s_cbranch_execnz .LBB3_548
.LBB3_547:                              ;   in Loop: Header=BB3_540 Depth=1
	global_load_dwordx2 v[8:9], v26, s[10:11]
	s_add_i32 s20, s14, -8
.LBB3_548:                              ;   in Loop: Header=BB3_540 Depth=1
	s_add_u32 s16, s4, 8
	s_addc_u32 s17, s5, 0
	s_cmp_gt_u32 s20, 7
	s_cbranch_scc1 .LBB3_552
; %bb.549:                              ;   in Loop: Header=BB3_540 Depth=1
	s_cmp_eq_u32 s20, 0
	s_cbranch_scc1 .LBB3_553
; %bb.550:                              ;   in Loop: Header=BB3_540 Depth=1
	v_mov_b32_e32 v10, 0
	s_mov_b64 s[16:17], 0
	v_mov_b32_e32 v11, 0
	s_mov_b64 s[18:19], 0
.LBB3_551:                              ;   Parent Loop BB3_540 Depth=1
                                        ; =>  This Inner Loop Header: Depth=2
	s_add_u32 s22, s4, s18
	s_addc_u32 s23, s5, s19
	global_load_ubyte v2, v26, s[22:23]
	s_add_u32 s18, s18, 1
	s_addc_u32 s19, s19, 0
	s_waitcnt vmcnt(0)
	v_and_b32_e32 v25, 0xffff, v2
	v_lshlrev_b64 v[2:3], s16, v[25:26]
	s_add_u32 s16, s16, 8
	s_addc_u32 s17, s17, 0
	v_or_b32_e32 v10, v2, v10
	s_cmp_lg_u32 s20, s18
	v_or_b32_e32 v11, v3, v11
	s_cbranch_scc1 .LBB3_551
	s_branch .LBB3_554
.LBB3_552:                              ;   in Loop: Header=BB3_540 Depth=1
                                        ; implicit-def: $vgpr10_vgpr11
	s_mov_b32 s21, 0
	s_branch .LBB3_555
.LBB3_553:                              ;   in Loop: Header=BB3_540 Depth=1
	v_mov_b32_e32 v10, 0
	v_mov_b32_e32 v11, 0
.LBB3_554:                              ;   in Loop: Header=BB3_540 Depth=1
	s_mov_b64 s[16:17], s[4:5]
	s_mov_b32 s21, 0
	s_cbranch_execnz .LBB3_556
.LBB3_555:                              ;   in Loop: Header=BB3_540 Depth=1
	global_load_dwordx2 v[10:11], v26, s[4:5]
	s_add_i32 s21, s20, -8
.LBB3_556:                              ;   in Loop: Header=BB3_540 Depth=1
	s_add_u32 s4, s16, 8
	s_addc_u32 s5, s17, 0
	s_cmp_gt_u32 s21, 7
	s_cbranch_scc1 .LBB3_560
; %bb.557:                              ;   in Loop: Header=BB3_540 Depth=1
	s_cmp_eq_u32 s21, 0
	s_cbranch_scc1 .LBB3_561
; %bb.558:                              ;   in Loop: Header=BB3_540 Depth=1
	v_mov_b32_e32 v12, 0
	s_mov_b64 s[4:5], 0
	v_mov_b32_e32 v13, 0
	s_mov_b64 s[18:19], 0
.LBB3_559:                              ;   Parent Loop BB3_540 Depth=1
                                        ; =>  This Inner Loop Header: Depth=2
	s_add_u32 s22, s16, s18
	s_addc_u32 s23, s17, s19
	global_load_ubyte v2, v26, s[22:23]
	s_add_u32 s18, s18, 1
	s_addc_u32 s19, s19, 0
	s_waitcnt vmcnt(0)
	v_and_b32_e32 v25, 0xffff, v2
	v_lshlrev_b64 v[2:3], s4, v[25:26]
	s_add_u32 s4, s4, 8
	s_addc_u32 s5, s5, 0
	v_or_b32_e32 v12, v2, v12
	s_cmp_lg_u32 s21, s18
	v_or_b32_e32 v13, v3, v13
	s_cbranch_scc1 .LBB3_559
	s_branch .LBB3_562
.LBB3_560:                              ;   in Loop: Header=BB3_540 Depth=1
	s_mov_b32 s20, 0
	s_branch .LBB3_563
.LBB3_561:                              ;   in Loop: Header=BB3_540 Depth=1
	v_mov_b32_e32 v12, 0
	v_mov_b32_e32 v13, 0
.LBB3_562:                              ;   in Loop: Header=BB3_540 Depth=1
	s_mov_b64 s[4:5], s[16:17]
	s_mov_b32 s20, 0
	s_cbranch_execnz .LBB3_564
.LBB3_563:                              ;   in Loop: Header=BB3_540 Depth=1
	global_load_dwordx2 v[12:13], v26, s[16:17]
	s_add_i32 s20, s21, -8
.LBB3_564:                              ;   in Loop: Header=BB3_540 Depth=1
	s_add_u32 s16, s4, 8
	s_addc_u32 s17, s5, 0
	s_cmp_gt_u32 s20, 7
	s_cbranch_scc1 .LBB3_568
; %bb.565:                              ;   in Loop: Header=BB3_540 Depth=1
	s_cmp_eq_u32 s20, 0
	s_cbranch_scc1 .LBB3_569
; %bb.566:                              ;   in Loop: Header=BB3_540 Depth=1
	v_mov_b32_e32 v14, 0
	s_mov_b64 s[16:17], 0
	v_mov_b32_e32 v15, 0
	s_mov_b64 s[18:19], 0
.LBB3_567:                              ;   Parent Loop BB3_540 Depth=1
                                        ; =>  This Inner Loop Header: Depth=2
	s_add_u32 s22, s4, s18
	s_addc_u32 s23, s5, s19
	global_load_ubyte v2, v26, s[22:23]
	s_add_u32 s18, s18, 1
	s_addc_u32 s19, s19, 0
	s_waitcnt vmcnt(0)
	v_and_b32_e32 v25, 0xffff, v2
	v_lshlrev_b64 v[2:3], s16, v[25:26]
	s_add_u32 s16, s16, 8
	s_addc_u32 s17, s17, 0
	v_or_b32_e32 v14, v2, v14
	s_cmp_lg_u32 s20, s18
	v_or_b32_e32 v15, v3, v15
	s_cbranch_scc1 .LBB3_567
	s_branch .LBB3_570
.LBB3_568:                              ;   in Loop: Header=BB3_540 Depth=1
                                        ; implicit-def: $vgpr14_vgpr15
	s_mov_b32 s21, 0
	s_branch .LBB3_571
.LBB3_569:                              ;   in Loop: Header=BB3_540 Depth=1
	v_mov_b32_e32 v14, 0
	v_mov_b32_e32 v15, 0
.LBB3_570:                              ;   in Loop: Header=BB3_540 Depth=1
	s_mov_b64 s[16:17], s[4:5]
	s_mov_b32 s21, 0
	s_cbranch_execnz .LBB3_572
.LBB3_571:                              ;   in Loop: Header=BB3_540 Depth=1
	global_load_dwordx2 v[14:15], v26, s[4:5]
	s_add_i32 s21, s20, -8
.LBB3_572:                              ;   in Loop: Header=BB3_540 Depth=1
	s_add_u32 s4, s16, 8
	s_addc_u32 s5, s17, 0
	s_cmp_gt_u32 s21, 7
	s_cbranch_scc1 .LBB3_576
; %bb.573:                              ;   in Loop: Header=BB3_540 Depth=1
	s_cmp_eq_u32 s21, 0
	s_cbranch_scc1 .LBB3_577
; %bb.574:                              ;   in Loop: Header=BB3_540 Depth=1
	v_mov_b32_e32 v16, 0
	s_mov_b64 s[4:5], 0
	v_mov_b32_e32 v17, 0
	s_mov_b64 s[18:19], 0
.LBB3_575:                              ;   Parent Loop BB3_540 Depth=1
                                        ; =>  This Inner Loop Header: Depth=2
	s_add_u32 s22, s16, s18
	s_addc_u32 s23, s17, s19
	global_load_ubyte v2, v26, s[22:23]
	s_add_u32 s18, s18, 1
	s_addc_u32 s19, s19, 0
	s_waitcnt vmcnt(0)
	v_and_b32_e32 v25, 0xffff, v2
	v_lshlrev_b64 v[2:3], s4, v[25:26]
	s_add_u32 s4, s4, 8
	s_addc_u32 s5, s5, 0
	v_or_b32_e32 v16, v2, v16
	s_cmp_lg_u32 s21, s18
	v_or_b32_e32 v17, v3, v17
	s_cbranch_scc1 .LBB3_575
	s_branch .LBB3_578
.LBB3_576:                              ;   in Loop: Header=BB3_540 Depth=1
	s_mov_b32 s20, 0
	s_branch .LBB3_579
.LBB3_577:                              ;   in Loop: Header=BB3_540 Depth=1
	v_mov_b32_e32 v16, 0
	v_mov_b32_e32 v17, 0
.LBB3_578:                              ;   in Loop: Header=BB3_540 Depth=1
	s_mov_b64 s[4:5], s[16:17]
	s_mov_b32 s20, 0
	s_cbranch_execnz .LBB3_580
.LBB3_579:                              ;   in Loop: Header=BB3_540 Depth=1
	global_load_dwordx2 v[16:17], v26, s[16:17]
	s_add_i32 s20, s21, -8
.LBB3_580:                              ;   in Loop: Header=BB3_540 Depth=1
	s_add_u32 s16, s4, 8
	s_addc_u32 s17, s5, 0
	s_cmp_gt_u32 s20, 7
	s_cbranch_scc1 .LBB3_584
; %bb.581:                              ;   in Loop: Header=BB3_540 Depth=1
	s_cmp_eq_u32 s20, 0
	s_cbranch_scc1 .LBB3_585
; %bb.582:                              ;   in Loop: Header=BB3_540 Depth=1
	v_mov_b32_e32 v18, 0
	s_mov_b64 s[16:17], 0
	v_mov_b32_e32 v19, 0
	s_mov_b64 s[18:19], 0
.LBB3_583:                              ;   Parent Loop BB3_540 Depth=1
                                        ; =>  This Inner Loop Header: Depth=2
	s_add_u32 s22, s4, s18
	s_addc_u32 s23, s5, s19
	global_load_ubyte v2, v26, s[22:23]
	s_add_u32 s18, s18, 1
	s_addc_u32 s19, s19, 0
	s_waitcnt vmcnt(0)
	v_and_b32_e32 v25, 0xffff, v2
	v_lshlrev_b64 v[2:3], s16, v[25:26]
	s_add_u32 s16, s16, 8
	s_addc_u32 s17, s17, 0
	v_or_b32_e32 v18, v2, v18
	s_cmp_lg_u32 s20, s18
	v_or_b32_e32 v19, v3, v19
	s_cbranch_scc1 .LBB3_583
	s_branch .LBB3_586
.LBB3_584:                              ;   in Loop: Header=BB3_540 Depth=1
                                        ; implicit-def: $vgpr18_vgpr19
	s_mov_b32 s21, 0
	s_branch .LBB3_587
.LBB3_585:                              ;   in Loop: Header=BB3_540 Depth=1
	v_mov_b32_e32 v18, 0
	v_mov_b32_e32 v19, 0
.LBB3_586:                              ;   in Loop: Header=BB3_540 Depth=1
	s_mov_b64 s[16:17], s[4:5]
	s_mov_b32 s21, 0
	s_cbranch_execnz .LBB3_588
.LBB3_587:                              ;   in Loop: Header=BB3_540 Depth=1
	global_load_dwordx2 v[18:19], v26, s[4:5]
	s_add_i32 s21, s20, -8
.LBB3_588:                              ;   in Loop: Header=BB3_540 Depth=1
	s_cmp_gt_u32 s21, 7
	s_cbranch_scc1 .LBB3_592
; %bb.589:                              ;   in Loop: Header=BB3_540 Depth=1
	s_cmp_eq_u32 s21, 0
	s_cbranch_scc1 .LBB3_593
; %bb.590:                              ;   in Loop: Header=BB3_540 Depth=1
	v_mov_b32_e32 v20, 0
	s_mov_b64 s[4:5], 0
	v_mov_b32_e32 v21, 0
	s_mov_b64 s[18:19], s[16:17]
.LBB3_591:                              ;   Parent Loop BB3_540 Depth=1
                                        ; =>  This Inner Loop Header: Depth=2
	global_load_ubyte v2, v26, s[18:19]
	s_add_i32 s21, s21, -1
	s_waitcnt vmcnt(0)
	v_and_b32_e32 v25, 0xffff, v2
	v_lshlrev_b64 v[2:3], s4, v[25:26]
	s_add_u32 s4, s4, 8
	s_addc_u32 s5, s5, 0
	s_add_u32 s18, s18, 1
	s_addc_u32 s19, s19, 0
	v_or_b32_e32 v20, v2, v20
	s_cmp_lg_u32 s21, 0
	v_or_b32_e32 v21, v3, v21
	s_cbranch_scc1 .LBB3_591
	s_branch .LBB3_594
.LBB3_592:                              ;   in Loop: Header=BB3_540 Depth=1
	s_branch .LBB3_595
.LBB3_593:                              ;   in Loop: Header=BB3_540 Depth=1
	v_mov_b32_e32 v20, 0
	v_mov_b32_e32 v21, 0
.LBB3_594:                              ;   in Loop: Header=BB3_540 Depth=1
	s_cbranch_execnz .LBB3_596
.LBB3_595:                              ;   in Loop: Header=BB3_540 Depth=1
	global_load_dwordx2 v[20:21], v26, s[16:17]
.LBB3_596:                              ;   in Loop: Header=BB3_540 Depth=1
	v_readfirstlane_b32 s4, v30
	v_mov_b32_e32 v2, 0
	v_mov_b32_e32 v3, 0
	v_cmp_eq_u32_e64 s[4:5], s4, v30
	s_and_saveexec_b64 s[16:17], s[4:5]
	s_cbranch_execz .LBB3_602
; %bb.597:                              ;   in Loop: Header=BB3_540 Depth=1
	global_load_dwordx2 v[24:25], v26, s[6:7] offset:24 glc
	s_waitcnt vmcnt(0)
	buffer_wbinvl1_vol
	global_load_dwordx2 v[2:3], v26, s[6:7] offset:40
	global_load_dwordx2 v[22:23], v26, s[6:7]
	s_waitcnt vmcnt(1)
	v_and_b32_e32 v2, v2, v24
	v_and_b32_e32 v3, v3, v25
	v_mul_lo_u32 v3, v3, 24
	v_mul_hi_u32 v27, v2, 24
	v_mul_lo_u32 v2, v2, 24
	v_add_u32_e32 v3, v27, v3
	s_waitcnt vmcnt(0)
	v_add_co_u32_e32 v2, vcc, v22, v2
	v_addc_co_u32_e32 v3, vcc, v23, v3, vcc
	global_load_dwordx2 v[22:23], v[2:3], off glc
	s_waitcnt vmcnt(0)
	global_atomic_cmpswap_x2 v[2:3], v26, v[22:25], s[6:7] offset:24 glc
	s_waitcnt vmcnt(0)
	buffer_wbinvl1_vol
	v_cmp_ne_u64_e32 vcc, v[2:3], v[24:25]
	s_and_saveexec_b64 s[18:19], vcc
	s_cbranch_execz .LBB3_601
; %bb.598:                              ;   in Loop: Header=BB3_540 Depth=1
	s_mov_b64 s[20:21], 0
.LBB3_599:                              ;   Parent Loop BB3_540 Depth=1
                                        ; =>  This Inner Loop Header: Depth=2
	s_sleep 1
	global_load_dwordx2 v[22:23], v26, s[6:7] offset:40
	global_load_dwordx2 v[27:28], v26, s[6:7]
	v_mov_b32_e32 v25, v3
	v_mov_b32_e32 v24, v2
	s_waitcnt vmcnt(1)
	v_and_b32_e32 v2, v22, v24
	s_waitcnt vmcnt(0)
	v_mad_u64_u32 v[2:3], s[22:23], v2, 24, v[27:28]
	v_and_b32_e32 v22, v23, v25
	v_mad_u64_u32 v[22:23], s[22:23], v22, 24, v[3:4]
	v_mov_b32_e32 v3, v22
	global_load_dwordx2 v[22:23], v[2:3], off glc
	s_waitcnt vmcnt(0)
	global_atomic_cmpswap_x2 v[2:3], v26, v[22:25], s[6:7] offset:24 glc
	s_waitcnt vmcnt(0)
	buffer_wbinvl1_vol
	v_cmp_eq_u64_e32 vcc, v[2:3], v[24:25]
	s_or_b64 s[20:21], vcc, s[20:21]
	s_andn2_b64 exec, exec, s[20:21]
	s_cbranch_execnz .LBB3_599
; %bb.600:                              ;   in Loop: Header=BB3_540 Depth=1
	s_or_b64 exec, exec, s[20:21]
.LBB3_601:                              ;   in Loop: Header=BB3_540 Depth=1
	s_or_b64 exec, exec, s[18:19]
.LBB3_602:                              ;   in Loop: Header=BB3_540 Depth=1
	s_or_b64 exec, exec, s[16:17]
	global_load_dwordx2 v[27:28], v26, s[6:7] offset:40
	global_load_dwordx4 v[22:25], v26, s[6:7]
	v_readfirstlane_b32 s17, v3
	v_readfirstlane_b32 s16, v2
	s_mov_b64 s[18:19], exec
	s_waitcnt vmcnt(1)
	v_readfirstlane_b32 s20, v27
	v_readfirstlane_b32 s21, v28
	s_and_b64 s[20:21], s[20:21], s[16:17]
	s_mul_i32 s22, s21, 24
	s_mul_hi_u32 s23, s20, 24
	s_mul_i32 s24, s20, 24
	s_add_i32 s22, s23, s22
	v_mov_b32_e32 v2, s22
	s_waitcnt vmcnt(0)
	v_add_co_u32_e32 v27, vcc, s24, v22
	v_addc_co_u32_e32 v28, vcc, v23, v2, vcc
	s_and_saveexec_b64 s[22:23], s[4:5]
	s_cbranch_execz .LBB3_604
; %bb.603:                              ;   in Loop: Header=BB3_540 Depth=1
	v_mov_b32_e32 v2, s18
	v_mov_b32_e32 v3, s19
	global_store_dwordx4 v[27:28], v[2:5], off offset:8
.LBB3_604:                              ;   in Loop: Header=BB3_540 Depth=1
	s_or_b64 exec, exec, s[22:23]
	s_lshl_b64 s[18:19], s[20:21], 12
	v_cmp_gt_u64_e64 s[20:21], s[12:13], 56
	v_mov_b32_e32 v2, s19
	v_add_co_u32_e32 v24, vcc, s18, v24
	s_and_b64 s[18:19], s[20:21], exec
	s_cselect_b32 s18, 0, 2
	s_lshl_b32 s19, s14, 2
	v_addc_co_u32_e32 v31, vcc, v25, v2, vcc
	s_add_i32 s19, s19, 28
	v_and_b32_e32 v2, 0xffffff1f, v6
	s_and_b32 s19, s19, 0x1e0
	v_or_b32_e32 v2, s18, v2
	v_or_b32_e32 v6, s19, v2
	v_readfirstlane_b32 s18, v24
	v_readfirstlane_b32 s19, v31
	s_nop 4
	global_store_dwordx4 v29, v[6:9], s[18:19]
	global_store_dwordx4 v29, v[10:13], s[18:19] offset:16
	global_store_dwordx4 v29, v[14:17], s[18:19] offset:32
	;; [unrolled: 1-line block ×3, first 2 shown]
	s_and_saveexec_b64 s[18:19], s[4:5]
	s_cbranch_execz .LBB3_612
; %bb.605:                              ;   in Loop: Header=BB3_540 Depth=1
	global_load_dwordx2 v[10:11], v26, s[6:7] offset:32 glc
	global_load_dwordx2 v[2:3], v26, s[6:7] offset:40
	v_mov_b32_e32 v8, s16
	v_mov_b32_e32 v9, s17
	s_waitcnt vmcnt(0)
	v_readfirstlane_b32 s20, v2
	v_readfirstlane_b32 s21, v3
	s_and_b64 s[20:21], s[20:21], s[16:17]
	s_mul_i32 s21, s21, 24
	s_mul_hi_u32 s22, s20, 24
	s_mul_i32 s20, s20, 24
	s_add_i32 s21, s22, s21
	v_mov_b32_e32 v3, s21
	v_add_co_u32_e32 v2, vcc, s20, v22
	v_addc_co_u32_e32 v3, vcc, v23, v3, vcc
	global_store_dwordx2 v[2:3], v[10:11], off
	s_waitcnt vmcnt(0)
	global_atomic_cmpswap_x2 v[8:9], v26, v[8:11], s[6:7] offset:32 glc
	s_waitcnt vmcnt(0)
	v_cmp_ne_u64_e32 vcc, v[8:9], v[10:11]
	s_and_saveexec_b64 s[20:21], vcc
	s_cbranch_execz .LBB3_608
; %bb.606:                              ;   in Loop: Header=BB3_540 Depth=1
	s_mov_b64 s[22:23], 0
.LBB3_607:                              ;   Parent Loop BB3_540 Depth=1
                                        ; =>  This Inner Loop Header: Depth=2
	s_sleep 1
	global_store_dwordx2 v[2:3], v[8:9], off
	v_mov_b32_e32 v6, s16
	v_mov_b32_e32 v7, s17
	s_waitcnt vmcnt(0)
	global_atomic_cmpswap_x2 v[6:7], v26, v[6:9], s[6:7] offset:32 glc
	s_waitcnt vmcnt(0)
	v_cmp_eq_u64_e32 vcc, v[6:7], v[8:9]
	v_mov_b32_e32 v9, v7
	s_or_b64 s[22:23], vcc, s[22:23]
	v_mov_b32_e32 v8, v6
	s_andn2_b64 exec, exec, s[22:23]
	s_cbranch_execnz .LBB3_607
.LBB3_608:                              ;   in Loop: Header=BB3_540 Depth=1
	s_or_b64 exec, exec, s[20:21]
	global_load_dwordx2 v[2:3], v26, s[6:7] offset:16
	s_mov_b64 s[22:23], exec
	v_mbcnt_lo_u32_b32 v6, s22, 0
	v_mbcnt_hi_u32_b32 v6, s23, v6
	v_cmp_eq_u32_e32 vcc, 0, v6
	s_and_saveexec_b64 s[20:21], vcc
	s_cbranch_execz .LBB3_610
; %bb.609:                              ;   in Loop: Header=BB3_540 Depth=1
	s_bcnt1_i32_b64 s22, s[22:23]
	v_mov_b32_e32 v25, s22
	s_waitcnt vmcnt(0)
	global_atomic_add_x2 v[2:3], v[25:26], off offset:8
.LBB3_610:                              ;   in Loop: Header=BB3_540 Depth=1
	s_or_b64 exec, exec, s[20:21]
	s_waitcnt vmcnt(0)
	global_load_dwordx2 v[6:7], v[2:3], off offset:16
	s_waitcnt vmcnt(0)
	v_cmp_eq_u64_e32 vcc, 0, v[6:7]
	s_cbranch_vccnz .LBB3_612
; %bb.611:                              ;   in Loop: Header=BB3_540 Depth=1
	global_load_dword v25, v[2:3], off offset:24
	s_waitcnt vmcnt(0)
	v_readfirstlane_b32 s20, v25
	s_and_b32 m0, s20, 0xffffff
	global_store_dwordx2 v[6:7], v[25:26], off
	s_sendmsg sendmsg(MSG_INTERRUPT)
.LBB3_612:                              ;   in Loop: Header=BB3_540 Depth=1
	s_or_b64 exec, exec, s[18:19]
	v_add_co_u32_e32 v2, vcc, v24, v29
	v_addc_co_u32_e32 v3, vcc, 0, v31, vcc
	s_branch .LBB3_616
.LBB3_613:                              ;   in Loop: Header=BB3_616 Depth=2
	s_or_b64 exec, exec, s[18:19]
	v_readfirstlane_b32 s18, v6
	s_cmp_eq_u32 s18, 0
	s_cbranch_scc1 .LBB3_615
; %bb.614:                              ;   in Loop: Header=BB3_616 Depth=2
	s_sleep 1
	s_cbranch_execnz .LBB3_616
	s_branch .LBB3_618
.LBB3_615:                              ;   in Loop: Header=BB3_540 Depth=1
	s_branch .LBB3_618
.LBB3_616:                              ;   Parent Loop BB3_540 Depth=1
                                        ; =>  This Inner Loop Header: Depth=2
	v_mov_b32_e32 v6, 1
	s_and_saveexec_b64 s[18:19], s[4:5]
	s_cbranch_execz .LBB3_613
; %bb.617:                              ;   in Loop: Header=BB3_616 Depth=2
	global_load_dword v6, v[27:28], off offset:20 glc
	s_waitcnt vmcnt(0)
	buffer_wbinvl1_vol
	v_and_b32_e32 v6, 1, v6
	s_branch .LBB3_613
.LBB3_618:                              ;   in Loop: Header=BB3_540 Depth=1
	global_load_dwordx4 v[6:9], v[2:3], off
	s_and_saveexec_b64 s[18:19], s[4:5]
	s_cbranch_execz .LBB3_539
; %bb.619:                              ;   in Loop: Header=BB3_540 Depth=1
	global_load_dwordx2 v[2:3], v26, s[6:7] offset:40
	global_load_dwordx2 v[12:13], v26, s[6:7] offset:24 glc
	global_load_dwordx2 v[8:9], v26, s[6:7]
	s_waitcnt vmcnt(2)
	v_readfirstlane_b32 s20, v2
	v_readfirstlane_b32 s21, v3
	s_add_u32 s22, s20, 1
	s_addc_u32 s23, s21, 0
	s_add_u32 s4, s22, s16
	s_addc_u32 s5, s23, s17
	s_cmp_eq_u64 s[4:5], 0
	s_cselect_b32 s5, s23, s5
	s_cselect_b32 s4, s22, s4
	s_and_b64 s[16:17], s[4:5], s[20:21]
	s_mul_i32 s17, s17, 24
	s_mul_hi_u32 s20, s16, 24
	s_mul_i32 s16, s16, 24
	s_add_i32 s17, s20, s17
	v_mov_b32_e32 v3, s17
	s_waitcnt vmcnt(0)
	v_add_co_u32_e32 v2, vcc, s16, v8
	v_addc_co_u32_e32 v3, vcc, v9, v3, vcc
	v_mov_b32_e32 v10, s4
	global_store_dwordx2 v[2:3], v[12:13], off
	v_mov_b32_e32 v11, s5
	s_waitcnt vmcnt(0)
	global_atomic_cmpswap_x2 v[10:11], v26, v[10:13], s[6:7] offset:24 glc
	s_waitcnt vmcnt(0)
	v_cmp_ne_u64_e32 vcc, v[10:11], v[12:13]
	s_and_b64 exec, exec, vcc
	s_cbranch_execz .LBB3_539
; %bb.620:                              ;   in Loop: Header=BB3_540 Depth=1
	s_mov_b64 s[16:17], 0
.LBB3_621:                              ;   Parent Loop BB3_540 Depth=1
                                        ; =>  This Inner Loop Header: Depth=2
	s_sleep 1
	global_store_dwordx2 v[2:3], v[10:11], off
	v_mov_b32_e32 v8, s4
	v_mov_b32_e32 v9, s5
	s_waitcnt vmcnt(0)
	global_atomic_cmpswap_x2 v[8:9], v26, v[8:11], s[6:7] offset:24 glc
	s_waitcnt vmcnt(0)
	v_cmp_eq_u64_e32 vcc, v[8:9], v[10:11]
	v_mov_b32_e32 v11, v9
	s_or_b64 s[16:17], vcc, s[16:17]
	v_mov_b32_e32 v10, v8
	s_andn2_b64 exec, exec, s[16:17]
	s_cbranch_execnz .LBB3_621
	s_branch .LBB3_539
.LBB3_622:
	s_mov_b64 s[4:5], 0
	s_branch .LBB3_624
.LBB3_623:
	s_mov_b64 s[4:5], -1
.LBB3_624:
	s_and_b64 vcc, exec, s[4:5]
	s_cbranch_vccz .LBB3_651
; %bb.625:
	v_readfirstlane_b32 s4, v30
	s_waitcnt vmcnt(0)
	v_mov_b32_e32 v8, 0
	v_mov_b32_e32 v9, 0
	v_cmp_eq_u32_e64 s[4:5], s4, v30
	s_and_saveexec_b64 s[10:11], s[4:5]
	s_cbranch_execz .LBB3_631
; %bb.626:
	v_mov_b32_e32 v2, 0
	global_load_dwordx2 v[5:6], v2, s[6:7] offset:24 glc
	s_waitcnt vmcnt(0)
	buffer_wbinvl1_vol
	global_load_dwordx2 v[3:4], v2, s[6:7] offset:40
	global_load_dwordx2 v[7:8], v2, s[6:7]
	s_waitcnt vmcnt(1)
	v_and_b32_e32 v3, v3, v5
	v_and_b32_e32 v4, v4, v6
	v_mul_lo_u32 v4, v4, 24
	v_mul_hi_u32 v9, v3, 24
	v_mul_lo_u32 v3, v3, 24
	v_add_u32_e32 v4, v9, v4
	s_waitcnt vmcnt(0)
	v_add_co_u32_e32 v3, vcc, v7, v3
	v_addc_co_u32_e32 v4, vcc, v8, v4, vcc
	global_load_dwordx2 v[3:4], v[3:4], off glc
	s_waitcnt vmcnt(0)
	global_atomic_cmpswap_x2 v[8:9], v2, v[3:6], s[6:7] offset:24 glc
	s_waitcnt vmcnt(0)
	buffer_wbinvl1_vol
	v_cmp_ne_u64_e32 vcc, v[8:9], v[5:6]
	s_and_saveexec_b64 s[12:13], vcc
	s_cbranch_execz .LBB3_630
; %bb.627:
	s_mov_b64 s[14:15], 0
.LBB3_628:                              ; =>This Inner Loop Header: Depth=1
	s_sleep 1
	global_load_dwordx2 v[3:4], v2, s[6:7] offset:40
	global_load_dwordx2 v[10:11], v2, s[6:7]
	v_mov_b32_e32 v5, v8
	v_mov_b32_e32 v6, v9
	s_waitcnt vmcnt(1)
	v_and_b32_e32 v3, v3, v5
	s_waitcnt vmcnt(0)
	v_mad_u64_u32 v[7:8], s[16:17], v3, 24, v[10:11]
	v_and_b32_e32 v4, v4, v6
	v_mov_b32_e32 v3, v8
	v_mad_u64_u32 v[3:4], s[16:17], v4, 24, v[3:4]
	v_mov_b32_e32 v8, v3
	global_load_dwordx2 v[3:4], v[7:8], off glc
	s_waitcnt vmcnt(0)
	global_atomic_cmpswap_x2 v[8:9], v2, v[3:6], s[6:7] offset:24 glc
	s_waitcnt vmcnt(0)
	buffer_wbinvl1_vol
	v_cmp_eq_u64_e32 vcc, v[8:9], v[5:6]
	s_or_b64 s[14:15], vcc, s[14:15]
	s_andn2_b64 exec, exec, s[14:15]
	s_cbranch_execnz .LBB3_628
; %bb.629:
	s_or_b64 exec, exec, s[14:15]
.LBB3_630:
	s_or_b64 exec, exec, s[12:13]
.LBB3_631:
	s_or_b64 exec, exec, s[10:11]
	v_mov_b32_e32 v2, 0
	global_load_dwordx2 v[10:11], v2, s[6:7] offset:40
	global_load_dwordx4 v[4:7], v2, s[6:7]
	v_readfirstlane_b32 s11, v9
	v_readfirstlane_b32 s10, v8
	s_mov_b64 s[12:13], exec
	s_waitcnt vmcnt(1)
	v_readfirstlane_b32 s14, v10
	v_readfirstlane_b32 s15, v11
	s_and_b64 s[14:15], s[14:15], s[10:11]
	s_mul_i32 s16, s15, 24
	s_mul_hi_u32 s17, s14, 24
	s_mul_i32 s18, s14, 24
	s_add_i32 s16, s17, s16
	v_mov_b32_e32 v3, s16
	s_waitcnt vmcnt(0)
	v_add_co_u32_e32 v8, vcc, s18, v4
	v_addc_co_u32_e32 v9, vcc, v5, v3, vcc
	s_and_saveexec_b64 s[16:17], s[4:5]
	s_cbranch_execz .LBB3_633
; %bb.632:
	v_mov_b32_e32 v10, s12
	v_mov_b32_e32 v11, s13
	;; [unrolled: 1-line block ×4, first 2 shown]
	global_store_dwordx4 v[8:9], v[10:13], off offset:8
.LBB3_633:
	s_or_b64 exec, exec, s[16:17]
	s_lshl_b64 s[12:13], s[14:15], 12
	v_mov_b32_e32 v3, s13
	v_add_co_u32_e32 v6, vcc, s12, v6
	v_addc_co_u32_e32 v7, vcc, v7, v3, vcc
	s_movk_i32 s12, 0xff1d
	v_and_or_b32 v0, v0, s12, 34
	s_mov_b32 s12, 0
	v_mov_b32_e32 v3, v2
	v_readfirstlane_b32 s16, v6
	v_readfirstlane_b32 s17, v7
	s_mov_b32 s13, s12
	s_mov_b32 s14, s12
	;; [unrolled: 1-line block ×3, first 2 shown]
	s_nop 1
	global_store_dwordx4 v29, v[0:3], s[16:17]
	s_nop 0
	v_mov_b32_e32 v0, s12
	v_mov_b32_e32 v1, s13
	;; [unrolled: 1-line block ×4, first 2 shown]
	global_store_dwordx4 v29, v[0:3], s[16:17] offset:16
	global_store_dwordx4 v29, v[0:3], s[16:17] offset:32
	;; [unrolled: 1-line block ×3, first 2 shown]
	s_and_saveexec_b64 s[12:13], s[4:5]
	s_cbranch_execz .LBB3_641
; %bb.634:
	v_mov_b32_e32 v6, 0
	global_load_dwordx2 v[12:13], v6, s[6:7] offset:32 glc
	global_load_dwordx2 v[0:1], v6, s[6:7] offset:40
	v_mov_b32_e32 v10, s10
	v_mov_b32_e32 v11, s11
	s_waitcnt vmcnt(0)
	v_readfirstlane_b32 s14, v0
	v_readfirstlane_b32 s15, v1
	s_and_b64 s[14:15], s[14:15], s[10:11]
	s_mul_i32 s15, s15, 24
	s_mul_hi_u32 s16, s14, 24
	s_mul_i32 s14, s14, 24
	s_add_i32 s15, s16, s15
	v_mov_b32_e32 v0, s15
	v_add_co_u32_e32 v4, vcc, s14, v4
	v_addc_co_u32_e32 v5, vcc, v5, v0, vcc
	global_store_dwordx2 v[4:5], v[12:13], off
	s_waitcnt vmcnt(0)
	global_atomic_cmpswap_x2 v[2:3], v6, v[10:13], s[6:7] offset:32 glc
	s_waitcnt vmcnt(0)
	v_cmp_ne_u64_e32 vcc, v[2:3], v[12:13]
	s_and_saveexec_b64 s[14:15], vcc
	s_cbranch_execz .LBB3_637
; %bb.635:
	s_mov_b64 s[16:17], 0
.LBB3_636:                              ; =>This Inner Loop Header: Depth=1
	s_sleep 1
	global_store_dwordx2 v[4:5], v[2:3], off
	v_mov_b32_e32 v0, s10
	v_mov_b32_e32 v1, s11
	s_waitcnt vmcnt(0)
	global_atomic_cmpswap_x2 v[0:1], v6, v[0:3], s[6:7] offset:32 glc
	s_waitcnt vmcnt(0)
	v_cmp_eq_u64_e32 vcc, v[0:1], v[2:3]
	v_mov_b32_e32 v3, v1
	s_or_b64 s[16:17], vcc, s[16:17]
	v_mov_b32_e32 v2, v0
	s_andn2_b64 exec, exec, s[16:17]
	s_cbranch_execnz .LBB3_636
.LBB3_637:
	s_or_b64 exec, exec, s[14:15]
	v_mov_b32_e32 v3, 0
	global_load_dwordx2 v[0:1], v3, s[6:7] offset:16
	s_mov_b64 s[14:15], exec
	v_mbcnt_lo_u32_b32 v2, s14, 0
	v_mbcnt_hi_u32_b32 v2, s15, v2
	v_cmp_eq_u32_e32 vcc, 0, v2
	s_and_saveexec_b64 s[16:17], vcc
	s_cbranch_execz .LBB3_639
; %bb.638:
	s_bcnt1_i32_b64 s14, s[14:15]
	v_mov_b32_e32 v2, s14
	s_waitcnt vmcnt(0)
	global_atomic_add_x2 v[0:1], v[2:3], off offset:8
.LBB3_639:
	s_or_b64 exec, exec, s[16:17]
	s_waitcnt vmcnt(0)
	global_load_dwordx2 v[2:3], v[0:1], off offset:16
	s_waitcnt vmcnt(0)
	v_cmp_eq_u64_e32 vcc, 0, v[2:3]
	s_cbranch_vccnz .LBB3_641
; %bb.640:
	global_load_dword v0, v[0:1], off offset:24
	v_mov_b32_e32 v1, 0
	s_waitcnt vmcnt(0)
	v_readfirstlane_b32 s14, v0
	s_and_b32 m0, s14, 0xffffff
	global_store_dwordx2 v[2:3], v[0:1], off
	s_sendmsg sendmsg(MSG_INTERRUPT)
.LBB3_641:
	s_or_b64 exec, exec, s[12:13]
	s_branch .LBB3_645
.LBB3_642:                              ;   in Loop: Header=BB3_645 Depth=1
	s_or_b64 exec, exec, s[12:13]
	v_readfirstlane_b32 s12, v0
	s_cmp_eq_u32 s12, 0
	s_cbranch_scc1 .LBB3_644
; %bb.643:                              ;   in Loop: Header=BB3_645 Depth=1
	s_sleep 1
	s_cbranch_execnz .LBB3_645
	s_branch .LBB3_647
.LBB3_644:
	s_branch .LBB3_647
.LBB3_645:                              ; =>This Inner Loop Header: Depth=1
	v_mov_b32_e32 v0, 1
	s_and_saveexec_b64 s[12:13], s[4:5]
	s_cbranch_execz .LBB3_642
; %bb.646:                              ;   in Loop: Header=BB3_645 Depth=1
	global_load_dword v0, v[8:9], off offset:20 glc
	s_waitcnt vmcnt(0)
	buffer_wbinvl1_vol
	v_and_b32_e32 v0, 1, v0
	s_branch .LBB3_642
.LBB3_647:
	s_and_saveexec_b64 s[12:13], s[4:5]
	s_cbranch_execz .LBB3_650
; %bb.648:
	v_mov_b32_e32 v6, 0
	global_load_dwordx2 v[0:1], v6, s[6:7] offset:40
	global_load_dwordx2 v[9:10], v6, s[6:7] offset:24 glc
	global_load_dwordx2 v[2:3], v6, s[6:7]
	s_waitcnt vmcnt(2)
	v_readfirstlane_b32 s14, v0
	v_readfirstlane_b32 s15, v1
	s_add_u32 s16, s14, 1
	s_addc_u32 s17, s15, 0
	s_add_u32 s4, s16, s10
	s_addc_u32 s5, s17, s11
	s_cmp_eq_u64 s[4:5], 0
	s_cselect_b32 s5, s17, s5
	s_cselect_b32 s4, s16, s4
	s_and_b64 s[10:11], s[4:5], s[14:15]
	s_mul_i32 s11, s11, 24
	s_mul_hi_u32 s14, s10, 24
	s_mul_i32 s10, s10, 24
	s_add_i32 s11, s14, s11
	v_mov_b32_e32 v0, s11
	s_waitcnt vmcnt(0)
	v_add_co_u32_e32 v4, vcc, s10, v2
	v_addc_co_u32_e32 v5, vcc, v3, v0, vcc
	v_mov_b32_e32 v7, s4
	global_store_dwordx2 v[4:5], v[9:10], off
	v_mov_b32_e32 v8, s5
	s_waitcnt vmcnt(0)
	global_atomic_cmpswap_x2 v[2:3], v6, v[7:10], s[6:7] offset:24 glc
	s_mov_b64 s[10:11], 0
	s_waitcnt vmcnt(0)
	v_cmp_ne_u64_e32 vcc, v[2:3], v[9:10]
	s_and_b64 exec, exec, vcc
	s_cbranch_execz .LBB3_650
.LBB3_649:                              ; =>This Inner Loop Header: Depth=1
	s_sleep 1
	global_store_dwordx2 v[4:5], v[2:3], off
	v_mov_b32_e32 v0, s4
	v_mov_b32_e32 v1, s5
	s_waitcnt vmcnt(0)
	global_atomic_cmpswap_x2 v[0:1], v6, v[0:3], s[6:7] offset:24 glc
	s_waitcnt vmcnt(0)
	v_cmp_eq_u64_e32 vcc, v[0:1], v[2:3]
	v_mov_b32_e32 v3, v1
	s_or_b64 s[10:11], vcc, s[10:11]
	v_mov_b32_e32 v2, v0
	s_andn2_b64 exec, exec, s[10:11]
	s_cbranch_execnz .LBB3_649
.LBB3_650:
	s_or_b64 exec, exec, s[12:13]
.LBB3_651:
	s_getpc_b64 s[4:5]
	s_add_u32 s4, s4, .str.29@rel32@lo+4
	s_addc_u32 s5, s5, .str.29@rel32@hi+12
	s_getpc_b64 s[6:7]
	s_add_u32 s6, s6, .str.19@rel32@lo+4
	s_addc_u32 s7, s7, .str.19@rel32@hi+12
	s_getpc_b64 s[10:11]
	s_add_u32 s10, s10, __PRETTY_FUNCTION__._ZN7VecsMemIjLi8192EE5fetchEi@rel32@lo+4
	s_addc_u32 s11, s11, __PRETTY_FUNCTION__._ZN7VecsMemIjLi8192EE5fetchEi@rel32@hi+12
	s_getpc_b64 s[12:13]
	s_add_u32 s12, s12, __assert_fail@rel32@lo+4
	s_addc_u32 s13, s13, __assert_fail@rel32@hi+12
	s_waitcnt vmcnt(0)
	v_mov_b32_e32 v0, s4
	v_mov_b32_e32 v1, s5
	;; [unrolled: 1-line block ×7, first 2 shown]
	s_mov_b64 s[26:27], s[8:9]
	s_swappc_b64 s[30:31], s[12:13]
	s_mov_b64 s[8:9], s[26:27]
	s_or_b64 s[4:5], s[40:41], exec
.LBB3_652:
	s_or_b64 exec, exec, s[46:47]
	s_andn2_b64 s[6:7], s[40:41], exec
	s_and_b64 s[4:5], s[4:5], exec
	s_or_b64 s[40:41], s[6:7], s[4:5]
	s_andn2_b64 s[4:5], s[28:29], exec
	s_and_b64 s[6:7], s[44:45], exec
	s_or_b64 s[28:29], s[4:5], s[6:7]
.LBB3_653:
	s_or_b64 exec, exec, s[42:43]
	s_andn2_b64 s[4:5], s[68:69], exec
	s_and_b64 s[6:7], s[40:41], exec
	s_or_b64 s[6:7], s[4:5], s[6:7]
	s_and_b64 s[10:11], s[28:29], exec
                                        ; implicit-def: $vgpr60_vgpr61
                                        ; implicit-def: $vgpr46
.LBB3_654:
	s_andn2_saveexec_b64 s[12:13], s[80:81]
	s_cbranch_execz .LBB3_659
; %bb.655:
	v_mov_b32_e32 v0, 0
	v_mov_b32_e32 v1, v0
	v_mov_b32_e32 v2, v0
	v_mov_b32_e32 v3, v0
	v_cmp_lt_i32_e32 vcc, 0, v46
	flat_store_dwordx4 v[60:61], v[0:3]
	s_and_saveexec_b64 s[14:15], vcc
	s_cbranch_execz .LBB3_658
; %bb.656:
	v_add_u32_e32 v1, -1, v46
	v_mov_b32_e32 v2, v0
	v_lshlrev_b64 v[1:2], 2, v[1:2]
	v_add_u32_e32 v3, 1, v46
	v_add_co_u32_e32 v1, vcc, v41, v1
	v_addc_co_u32_e32 v2, vcc, v42, v2, vcc
	s_mov_b64 s[16:17], 0
.LBB3_657:                              ; =>This Inner Loop Header: Depth=1
	v_add_u32_e32 v3, -1, v3
	flat_store_dword v[1:2], v0
	v_add_co_u32_e32 v1, vcc, -4, v1
	v_cmp_gt_u32_e64 s[4:5], 2, v3
	s_or_b64 s[16:17], s[4:5], s[16:17]
	v_addc_co_u32_e32 v2, vcc, -1, v2, vcc
	s_andn2_b64 exec, exec, s[16:17]
	s_cbranch_execnz .LBB3_657
.LBB3_658:
	s_or_b64 exec, exec, s[14:15]
	s_or_b64 s[10:11], s[10:11], exec
.LBB3_659:
	s_or_b64 exec, exec, s[12:13]
	s_and_saveexec_b64 s[4:5], s[10:11]
	s_xor_b64 s[4:5], exec, s[4:5]
	s_or_b64 exec, exec, s[4:5]
	s_andn2_b64 s[4:5], s[68:69], exec
	s_and_b64 s[6:7], s[6:7], exec
	s_or_b64 s[26:27], s[4:5], s[6:7]
.LBB3_660:
	s_andn2_saveexec_b64 s[28:29], s[50:51]
	s_cbranch_execz .LBB3_662
; %bb.661:
	s_getpc_b64 s[4:5]
	s_add_u32 s4, s4, .str.17@rel32@lo+4
	s_addc_u32 s5, s5, .str.17@rel32@hi+12
	s_getpc_b64 s[6:7]
	s_add_u32 s6, s6, .str.16@rel32@lo+4
	s_addc_u32 s7, s7, .str.16@rel32@hi+12
	s_getpc_b64 s[10:11]
	s_add_u32 s10, s10, __PRETTY_FUNCTION__._ZN3sop13minatoIsopRecEPKjS1_iPNS_3SopEP7VecsMemIjLi8192EE@rel32@lo+4
	s_addc_u32 s11, s11, __PRETTY_FUNCTION__._ZN3sop13minatoIsopRecEPKjS1_iPNS_3SopEP7VecsMemIjLi8192EE@rel32@hi+12
	s_getpc_b64 s[12:13]
	s_add_u32 s12, s12, __assert_fail@rel32@lo+4
	s_addc_u32 s13, s13, __assert_fail@rel32@hi+12
	v_mov_b32_e32 v0, s4
	v_mov_b32_e32 v1, s5
	;; [unrolled: 1-line block ×7, first 2 shown]
	s_swappc_b64 s[30:31], s[12:13]
	s_or_b64 s[26:27], s[26:27], exec
.LBB3_662:
	s_or_b64 exec, exec, s[28:29]
	s_andn2_b64 s[4:5], s[68:69], exec
	s_and_b64 s[6:7], s[26:27], exec
	s_or_b64 s[68:69], s[4:5], s[6:7]
	s_or_b64 exec, exec, s[70:71]
	s_and_saveexec_b64 s[4:5], s[68:69]
	s_cbranch_execnz .LBB3_3
	s_branch .LBB3_4
.Lfunc_end3:
	.size	_ZN3sop13minatoIsopRecEPKjS1_iPNS_3SopEP7VecsMemIjLi8192EE, .Lfunc_end3-_ZN3sop13minatoIsopRecEPKjS1_iPNS_3SopEP7VecsMemIjLi8192EE
                                        ; -- End function
	.set .L_ZN3sop13minatoIsopRecEPKjS1_iPNS_3SopEP7VecsMemIjLi8192EE.num_vgpr, max(64, .L__assert_fail.num_vgpr, .L_ZN3sop14minatoIsop5RecEjjiPNS_3SopEP7VecsMemIjLi8192EE.num_vgpr)
	.set .L_ZN3sop13minatoIsopRecEPKjS1_iPNS_3SopEP7VecsMemIjLi8192EE.num_agpr, max(0, .L__assert_fail.num_agpr, .L_ZN3sop14minatoIsop5RecEjjiPNS_3SopEP7VecsMemIjLi8192EE.num_agpr)
	.set .L_ZN3sop13minatoIsopRecEPKjS1_iPNS_3SopEP7VecsMemIjLi8192EE.numbered_sgpr, max(100, .L__assert_fail.numbered_sgpr, .L_ZN3sop14minatoIsop5RecEjjiPNS_3SopEP7VecsMemIjLi8192EE.numbered_sgpr)
	.set .L_ZN3sop13minatoIsopRecEPKjS1_iPNS_3SopEP7VecsMemIjLi8192EE.num_named_barrier, max(0, .L__assert_fail.num_named_barrier, .L_ZN3sop14minatoIsop5RecEjjiPNS_3SopEP7VecsMemIjLi8192EE.num_named_barrier)
	.set .L_ZN3sop13minatoIsopRecEPKjS1_iPNS_3SopEP7VecsMemIjLi8192EE.private_seg_size, 160+max(.L__assert_fail.private_seg_size, .L_ZN3sop14minatoIsop5RecEjjiPNS_3SopEP7VecsMemIjLi8192EE.private_seg_size)
	.set .L_ZN3sop13minatoIsopRecEPKjS1_iPNS_3SopEP7VecsMemIjLi8192EE.uses_vcc, or(1, .L__assert_fail.uses_vcc, .L_ZN3sop14minatoIsop5RecEjjiPNS_3SopEP7VecsMemIjLi8192EE.uses_vcc)
	.set .L_ZN3sop13minatoIsopRecEPKjS1_iPNS_3SopEP7VecsMemIjLi8192EE.uses_flat_scratch, or(0, .L__assert_fail.uses_flat_scratch, .L_ZN3sop14minatoIsop5RecEjjiPNS_3SopEP7VecsMemIjLi8192EE.uses_flat_scratch)
	.set .L_ZN3sop13minatoIsopRecEPKjS1_iPNS_3SopEP7VecsMemIjLi8192EE.has_dyn_sized_stack, or(0, .L__assert_fail.has_dyn_sized_stack, .L_ZN3sop14minatoIsop5RecEjjiPNS_3SopEP7VecsMemIjLi8192EE.has_dyn_sized_stack)
	.set .L_ZN3sop13minatoIsopRecEPKjS1_iPNS_3SopEP7VecsMemIjLi8192EE.has_recursion, or(1, .L__assert_fail.has_recursion, .L_ZN3sop14minatoIsop5RecEjjiPNS_3SopEP7VecsMemIjLi8192EE.has_recursion)
	.set .L_ZN3sop13minatoIsopRecEPKjS1_iPNS_3SopEP7VecsMemIjLi8192EE.has_indirect_call, or(0, .L__assert_fail.has_indirect_call, .L_ZN3sop14minatoIsop5RecEjjiPNS_3SopEP7VecsMemIjLi8192EE.has_indirect_call)
	.section	.AMDGPU.csdata,"",@progbits
; Function info:
; codeLenInByte = 23164
; TotalNumSgprs: 104
; NumVgprs: 64
; ScratchSize: 336
; MemoryBound: 0
	.text
	.p2align	2                               ; -- Begin function _ZN3sop23sopFactorTrivialCubeRecEjiiPN8subgUtil4SubgILi256EEE
	.type	_ZN3sop23sopFactorTrivialCubeRecEjiiPN8subgUtil4SubgILi256EEE,@function
_ZN3sop23sopFactorTrivialCubeRecEjiiPN8subgUtil4SubgILi256EEE: ; @_ZN3sop23sopFactorTrivialCubeRecEjiiPN8subgUtil4SubgILi256EEE
; %bb.0:
	s_waitcnt vmcnt(0) expcnt(0) lgkmcnt(0)
	s_mov_b32 s4, s33
	s_mov_b32 s33, s32
	s_or_saveexec_b64 s[6:7], -1
	buffer_store_dword v46, off, s[0:3], s33 offset:24 ; 4-byte Folded Spill
	s_mov_b64 exec, s[6:7]
	v_writelane_b32 v46, s4, 14
	s_addk_i32 s32, 0x800
	buffer_store_dword v40, off, s[0:3], s33 offset:20 ; 4-byte Folded Spill
	buffer_store_dword v41, off, s[0:3], s33 offset:16 ; 4-byte Folded Spill
	;; [unrolled: 1-line block ×5, first 2 shown]
	buffer_store_dword v45, off, s[0:3], s33 ; 4-byte Folded Spill
	v_writelane_b32 v46, s34, 0
	v_writelane_b32 v46, s35, 1
	v_writelane_b32 v46, s36, 2
	v_writelane_b32 v46, s37, 3
	v_writelane_b32 v46, s38, 4
	v_writelane_b32 v46, s39, 5
	v_writelane_b32 v46, s48, 6
	v_writelane_b32 v46, s49, 7
	v_writelane_b32 v46, s50, 8
	v_writelane_b32 v46, s51, 9
	v_writelane_b32 v46, s52, 10
	v_writelane_b32 v46, s53, 11
	v_writelane_b32 v46, s30, 12
	v_writelane_b32 v46, s31, 13
	v_mov_b32_e32 v41, v4
	v_mov_b32_e32 v40, v3
	v_cmp_ne_u32_e32 vcc, 0, v0
	s_mov_b64 s[26:27], 0
                                        ; implicit-def: $vgpr53
	s_and_saveexec_b64 s[4:5], vcc
	s_xor_b64 s[38:39], exec, s[4:5]
	s_cbranch_execnz .LBB4_5
; %bb.1:
	s_andn2_saveexec_b64 s[28:29], s[38:39]
	s_cbranch_execnz .LBB4_34
.LBB4_2:
	s_or_b64 exec, exec, s[28:29]
	s_and_saveexec_b64 s[4:5], s[26:27]
.LBB4_3:
	; divergent unreachable
.LBB4_4:
	s_or_b64 exec, exec, s[4:5]
	buffer_load_dword v45, off, s[0:3], s33 ; 4-byte Folded Reload
	buffer_load_dword v44, off, s[0:3], s33 offset:4 ; 4-byte Folded Reload
	buffer_load_dword v43, off, s[0:3], s33 offset:8 ; 4-byte Folded Reload
	;; [unrolled: 1-line block ×5, first 2 shown]
	v_readlane_b32 s30, v46, 12
	v_mov_b32_e32 v0, v53
	v_readlane_b32 s31, v46, 13
	v_readlane_b32 s53, v46, 11
	;; [unrolled: 1-line block ×13, first 2 shown]
	s_mov_b32 s32, s33
	v_readlane_b32 s4, v46, 14
	s_or_saveexec_b64 s[6:7], -1
	buffer_load_dword v46, off, s[0:3], s33 offset:24 ; 4-byte Folded Reload
	s_mov_b64 exec, s[6:7]
	s_mov_b32 s33, s4
	s_waitcnt vmcnt(0) lgkmcnt(0)
	s_setpc_b64 s[30:31]
.LBB4_5:
	v_cmp_lt_i32_e32 vcc, v1, v2
	v_mov_b32_e32 v53, -1
	v_mov_b32_e32 v3, 0
	s_and_saveexec_b64 s[6:7], vcc
	s_cbranch_execz .LBB4_9
; %bb.6:
	v_mov_b32_e32 v53, -1
	v_mov_b32_e32 v3, 0
	s_mov_b64 s[10:11], 0
	v_mov_b32_e32 v4, v1
.LBB4_7:                                ; =>This Inner Loop Header: Depth=1
	v_lshrrev_b32_e32 v5, v4, v0
	v_and_b32_e32 v5, 1, v5
	v_cmp_eq_u32_e64 s[4:5], 1, v5
	v_bfe_u32 v6, v0, v4, 1
	v_cndmask_b32_e64 v53, v53, v4, s[4:5]
	v_add_u32_e32 v4, 1, v4
	v_cmp_ge_i32_e64 s[4:5], v4, v2
	s_or_b64 s[10:11], s[4:5], s[10:11]
	v_add_u32_e32 v3, v3, v6
	s_andn2_b64 exec, exec, s[10:11]
	s_cbranch_execnz .LBB4_7
; %bb.8:
	s_or_b64 exec, exec, s[10:11]
.LBB4_9:
	s_or_b64 exec, exec, s[6:7]
	v_cmp_ne_u32_e64 s[4:5], -1, v53
	s_mov_b64 s[28:29], 0
	s_and_saveexec_b64 s[6:7], s[4:5]
	s_xor_b64 s[48:49], exec, s[6:7]
	s_cbranch_execz .LBB4_31
; %bb.10:
	v_cmp_ne_u32_e64 s[4:5], 1, v3
	s_mov_b64 s[6:7], 0
	s_and_saveexec_b64 s[50:51], s[4:5]
	s_cbranch_execz .LBB4_30
; %bb.11:
	v_mov_b32_e32 v43, v1
	s_and_saveexec_b64 s[4:5], vcc
	s_cbranch_execz .LBB4_21
; %bb.12:
	v_lshrrev_b32_e32 v3, 1, v3
	v_mov_b32_e32 v4, 0
	v_mov_b32_e32 v5, v1
	s_branch .LBB4_14
.LBB4_13:                               ;   in Loop: Header=BB4_14 Depth=1
	s_or_b64 exec, exec, s[12:13]
	s_and_b64 s[10:11], exec, s[10:11]
	v_mov_b32_e32 v43, v5
	s_or_b64 s[6:7], s[10:11], s[6:7]
	v_mov_b32_e32 v5, v6
	s_andn2_b64 exec, exec, s[6:7]
	s_cbranch_execz .LBB4_20
.LBB4_14:                               ; =>This Inner Loop Header: Depth=1
	v_lshrrev_b32_e32 v6, v5, v0
	v_and_b32_e32 v6, 1, v6
	v_cmp_eq_u32_e32 vcc, 1, v6
	s_mov_b64 s[10:11], -1
	s_mov_b64 s[14:15], -1
	s_and_saveexec_b64 s[12:13], vcc
	s_cbranch_execz .LBB4_18
; %bb.15:                               ;   in Loop: Header=BB4_14 Depth=1
	v_cmp_ne_u32_e32 vcc, v4, v3
	s_mov_b64 s[14:15], 0
	s_and_saveexec_b64 s[16:17], vcc
; %bb.16:                               ;   in Loop: Header=BB4_14 Depth=1
	s_mov_b64 s[14:15], exec
	v_add_u32_e32 v4, 1, v4
; %bb.17:                               ;   in Loop: Header=BB4_14 Depth=1
	s_or_b64 exec, exec, s[16:17]
	s_orn2_b64 s[14:15], s[14:15], exec
.LBB4_18:                               ;   in Loop: Header=BB4_14 Depth=1
	s_or_b64 exec, exec, s[12:13]
                                        ; implicit-def: $vgpr6
	s_and_saveexec_b64 s[12:13], s[14:15]
	s_cbranch_execz .LBB4_13
; %bb.19:                               ;   in Loop: Header=BB4_14 Depth=1
	v_add_u32_e32 v6, 1, v5
	v_cmp_ge_i32_e32 vcc, v6, v2
	s_orn2_b64 s[10:11], vcc, exec
	v_mov_b32_e32 v5, v2
	s_branch .LBB4_13
.LBB4_20:
	s_or_b64 exec, exec, s[6:7]
.LBB4_21:
	s_or_b64 exec, exec, s[4:5]
	v_mov_b32_e32 v44, v2
	s_getpc_b64 s[52:53]
	s_add_u32 s52, s52, _ZN3sop23sopFactorTrivialCubeRecEjiiPN8subgUtil4SubgILi256EEE@rel32@lo+4
	s_addc_u32 s53, s53, _ZN3sop23sopFactorTrivialCubeRecEjiiPN8subgUtil4SubgILi256EEE@rel32@hi+12
	v_mov_b32_e32 v2, v43
	v_mov_b32_e32 v3, v40
	;; [unrolled: 1-line block ×3, first 2 shown]
	s_mov_b64 s[36:37], s[8:9]
	v_mov_b32_e32 v45, v0
	s_swappc_b64 s[30:31], s[52:53]
	v_mov_b32_e32 v42, v0
	s_mov_b64 s[8:9], s[36:37]
	v_mov_b32_e32 v0, v45
	v_mov_b32_e32 v1, v43
	;; [unrolled: 1-line block ×5, first 2 shown]
	s_mov_b64 s[34:35], s[36:37]
	s_swappc_b64 s[30:31], s[52:53]
	flat_load_dword v1, v[40:41]
	s_movk_i32 s4, 0xff
	s_mov_b64 s[26:27], 0
	s_waitcnt vmcnt(0) lgkmcnt(0)
	v_cmp_lt_i32_e32 vcc, s4, v1
	s_and_saveexec_b64 s[4:5], vcc
	s_xor_b64 s[28:29], exec, s[4:5]
	s_cbranch_execz .LBB4_23
; %bb.22:
	s_getpc_b64 s[4:5]
	s_add_u32 s4, s4, .str.43@rel32@lo+4
	s_addc_u32 s5, s5, .str.43@rel32@hi+12
	s_getpc_b64 s[6:7]
	s_add_u32 s6, s6, .str.44@rel32@lo+4
	s_addc_u32 s7, s7, .str.44@rel32@hi+12
	s_getpc_b64 s[10:11]
	s_add_u32 s10, s10, __PRETTY_FUNCTION__._ZN8subgUtil4SubgILi256EE10addNodeAndEii@rel32@lo+4
	s_addc_u32 s11, s11, __PRETTY_FUNCTION__._ZN8subgUtil4SubgILi256EE10addNodeAndEii@rel32@hi+12
	s_getpc_b64 s[12:13]
	s_add_u32 s12, s12, __assert_fail@rel32@lo+4
	s_addc_u32 s13, s13, __assert_fail@rel32@hi+12
	s_mov_b64 s[8:9], s[34:35]
	v_mov_b32_e32 v0, s4
	v_mov_b32_e32 v1, s5
	;; [unrolled: 1-line block ×7, first 2 shown]
	s_swappc_b64 s[30:31], s[12:13]
	s_mov_b64 s[26:27], exec
                                        ; implicit-def: $vgpr0
                                        ; implicit-def: $vgpr42
                                        ; implicit-def: $vgpr1
                                        ; implicit-def: $vgpr40_vgpr41
.LBB4_23:
	s_or_saveexec_b64 s[28:29], s[28:29]
	s_mov_b64 s[8:9], s[34:35]
                                        ; implicit-def: $vgpr53
	s_xor_b64 exec, exec, s[28:29]
	s_cbranch_execz .LBB4_29
; %bb.24:
	v_or_b32_e32 v2, v0, v42
	v_cmp_lt_i32_e32 vcc, -1, v2
                                        ; implicit-def: $vgpr53
	s_and_saveexec_b64 s[4:5], vcc
	s_xor_b64 s[4:5], exec, s[4:5]
	s_cbranch_execz .LBB4_26
; %bb.25:
	v_ashrrev_i32_e32 v2, 31, v1
	v_lshlrev_b64 v[5:6], 3, v[1:2]
	v_min_i32_e32 v4, v42, v0
	v_max_i32_e32 v0, v42, v0
	v_add_co_u32_e32 v5, vcc, v40, v5
	v_lshlrev_b32_e32 v3, 1, v0
	v_add_u32_e32 v0, 1, v1
	v_addc_co_u32_e32 v6, vcc, v41, v6, vcc
	flat_store_dword v[40:41], v0
	flat_store_dwordx2 v[5:6], v[3:4] offset:8
	v_lshlrev_b32_e32 v53, 1, v1
.LBB4_26:
	s_or_saveexec_b64 s[40:41], s[4:5]
	s_mov_b64 s[4:5], s[26:27]
	s_xor_b64 exec, exec, s[40:41]
	s_cbranch_execz .LBB4_28
; %bb.27:
	s_getpc_b64 s[4:5]
	s_add_u32 s4, s4, .str.46@rel32@lo+4
	s_addc_u32 s5, s5, .str.46@rel32@hi+12
	s_getpc_b64 s[6:7]
	s_add_u32 s6, s6, .str.44@rel32@lo+4
	s_addc_u32 s7, s7, .str.44@rel32@hi+12
	s_getpc_b64 s[10:11]
	s_add_u32 s10, s10, __PRETTY_FUNCTION__._ZN8subgUtil18formAndNodeKeyFlagEiii@rel32@lo+4
	s_addc_u32 s11, s11, __PRETTY_FUNCTION__._ZN8subgUtil18formAndNodeKeyFlagEiii@rel32@hi+12
	s_getpc_b64 s[12:13]
	s_add_u32 s12, s12, __assert_fail@rel32@lo+4
	s_addc_u32 s13, s13, __assert_fail@rel32@hi+12
	s_mov_b64 s[8:9], s[34:35]
	v_mov_b32_e32 v0, s4
	v_mov_b32_e32 v1, s5
	;; [unrolled: 1-line block ×7, first 2 shown]
	s_swappc_b64 s[30:31], s[12:13]
	s_mov_b64 s[8:9], s[34:35]
	s_or_b64 s[4:5], s[26:27], exec
.LBB4_28:
	s_or_b64 exec, exec, s[40:41]
	s_andn2_b64 s[6:7], s[26:27], exec
	s_and_b64 s[4:5], s[4:5], exec
	s_or_b64 s[26:27], s[6:7], s[4:5]
.LBB4_29:
	s_or_b64 exec, exec, s[28:29]
	s_and_b64 s[6:7], s[26:27], exec
.LBB4_30:
	s_or_b64 exec, exec, s[50:51]
	s_and_b64 s[28:29], s[6:7], exec
.LBB4_31:
	s_andn2_saveexec_b64 s[40:41], s[48:49]
	s_cbranch_execz .LBB4_33
; %bb.32:
	s_getpc_b64 s[4:5]
	s_add_u32 s4, s4, .str.37@rel32@lo+4
	s_addc_u32 s5, s5, .str.37@rel32@hi+12
	s_getpc_b64 s[6:7]
	s_add_u32 s6, s6, .str.31@rel32@lo+4
	s_addc_u32 s7, s7, .str.31@rel32@hi+12
	s_getpc_b64 s[10:11]
	s_add_u32 s10, s10, __PRETTY_FUNCTION__._ZN3sop23sopFactorTrivialCubeRecEjiiPN8subgUtil4SubgILi256EEE@rel32@lo+4
	s_addc_u32 s11, s11, __PRETTY_FUNCTION__._ZN3sop23sopFactorTrivialCubeRecEjiiPN8subgUtil4SubgILi256EEE@rel32@hi+12
	s_getpc_b64 s[12:13]
	s_add_u32 s12, s12, __assert_fail@rel32@lo+4
	s_addc_u32 s13, s13, __assert_fail@rel32@hi+12
	v_mov_b32_e32 v0, s4
	v_mov_b32_e32 v1, s5
	;; [unrolled: 1-line block ×7, first 2 shown]
	s_mov_b64 s[26:27], s[8:9]
	s_swappc_b64 s[30:31], s[12:13]
	s_mov_b64 s[8:9], s[26:27]
	s_or_b64 s[28:29], s[28:29], exec
.LBB4_33:
	s_or_b64 exec, exec, s[40:41]
	s_and_b64 s[26:27], s[28:29], exec
	s_andn2_saveexec_b64 s[28:29], s[38:39]
	s_cbranch_execz .LBB4_2
.LBB4_34:
	s_getpc_b64 s[4:5]
	s_add_u32 s4, s4, .str.36@rel32@lo+4
	s_addc_u32 s5, s5, .str.36@rel32@hi+12
	s_getpc_b64 s[6:7]
	s_add_u32 s6, s6, .str.31@rel32@lo+4
	s_addc_u32 s7, s7, .str.31@rel32@hi+12
	s_getpc_b64 s[10:11]
	s_add_u32 s10, s10, __PRETTY_FUNCTION__._ZN3sop23sopFactorTrivialCubeRecEjiiPN8subgUtil4SubgILi256EEE@rel32@lo+4
	s_addc_u32 s11, s11, __PRETTY_FUNCTION__._ZN3sop23sopFactorTrivialCubeRecEjiiPN8subgUtil4SubgILi256EEE@rel32@hi+12
	s_getpc_b64 s[12:13]
	s_add_u32 s12, s12, __assert_fail@rel32@lo+4
	s_addc_u32 s13, s13, __assert_fail@rel32@hi+12
	v_mov_b32_e32 v0, s4
	v_mov_b32_e32 v1, s5
	;; [unrolled: 1-line block ×7, first 2 shown]
	s_swappc_b64 s[30:31], s[12:13]
	s_or_b64 s[26:27], s[26:27], exec
	s_or_b64 exec, exec, s[28:29]
	s_and_saveexec_b64 s[4:5], s[26:27]
	s_cbranch_execnz .LBB4_3
	s_branch .LBB4_4
.Lfunc_end4:
	.size	_ZN3sop23sopFactorTrivialCubeRecEjiiPN8subgUtil4SubgILi256EEE, .Lfunc_end4-_ZN3sop23sopFactorTrivialCubeRecEjiiPN8subgUtil4SubgILi256EEE
                                        ; -- End function
	.set .L_ZN3sop23sopFactorTrivialCubeRecEjiiPN8subgUtil4SubgILi256EEE.num_vgpr, max(54, .L__assert_fail.num_vgpr)
	.set .L_ZN3sop23sopFactorTrivialCubeRecEjiiPN8subgUtil4SubgILi256EEE.num_agpr, max(0, .L__assert_fail.num_agpr)
	.set .L_ZN3sop23sopFactorTrivialCubeRecEjiiPN8subgUtil4SubgILi256EEE.numbered_sgpr, max(54, .L__assert_fail.numbered_sgpr)
	.set .L_ZN3sop23sopFactorTrivialCubeRecEjiiPN8subgUtil4SubgILi256EEE.num_named_barrier, max(0, .L__assert_fail.num_named_barrier)
	.set .L_ZN3sop23sopFactorTrivialCubeRecEjiiPN8subgUtil4SubgILi256EEE.private_seg_size, 32+max(.L__assert_fail.private_seg_size)
	.set .L_ZN3sop23sopFactorTrivialCubeRecEjiiPN8subgUtil4SubgILi256EEE.uses_vcc, or(1, .L__assert_fail.uses_vcc)
	.set .L_ZN3sop23sopFactorTrivialCubeRecEjiiPN8subgUtil4SubgILi256EEE.uses_flat_scratch, or(0, .L__assert_fail.uses_flat_scratch)
	.set .L_ZN3sop23sopFactorTrivialCubeRecEjiiPN8subgUtil4SubgILi256EEE.has_dyn_sized_stack, or(0, .L__assert_fail.has_dyn_sized_stack)
	.set .L_ZN3sop23sopFactorTrivialCubeRecEjiiPN8subgUtil4SubgILi256EEE.has_recursion, or(1, .L__assert_fail.has_recursion)
	.set .L_ZN3sop23sopFactorTrivialCubeRecEjiiPN8subgUtil4SubgILi256EEE.has_indirect_call, or(0, .L__assert_fail.has_indirect_call)
	.section	.AMDGPU.csdata,"",@progbits
; Function info:
; codeLenInByte = 1544
; TotalNumSgprs: 58
; NumVgprs: 54
; ScratchSize: 96
; MemoryBound: 0
	.text
	.p2align	2                               ; -- Begin function _ZN3sop19sopFactorTrivialRecEPjiiPN8subgUtil4SubgILi256EEE
	.type	_ZN3sop19sopFactorTrivialRecEPjiiPN8subgUtil4SubgILi256EEE,@function
_ZN3sop19sopFactorTrivialRecEPjiiPN8subgUtil4SubgILi256EEE: ; @_ZN3sop19sopFactorTrivialRecEPjiiPN8subgUtil4SubgILi256EEE
; %bb.0:
	s_waitcnt vmcnt(0) expcnt(0) lgkmcnt(0)
	s_mov_b32 s4, s33
	s_mov_b32 s33, s32
	s_or_saveexec_b64 s[6:7], -1
	buffer_store_dword v57, off, s[0:3], s33 offset:36 ; 4-byte Folded Spill
	s_mov_b64 exec, s[6:7]
	v_writelane_b32 v57, s4, 16
	s_addk_i32 s32, 0xc00
	buffer_store_dword v40, off, s[0:3], s33 offset:32 ; 4-byte Folded Spill
	buffer_store_dword v41, off, s[0:3], s33 offset:28 ; 4-byte Folded Spill
	;; [unrolled: 1-line block ×8, first 2 shown]
	buffer_store_dword v56, off, s[0:3], s33 ; 4-byte Folded Spill
	v_writelane_b32 v57, s34, 0
	v_writelane_b32 v57, s35, 1
	;; [unrolled: 1-line block ×16, first 2 shown]
	v_mov_b32_e32 v41, v5
	v_mov_b32_e32 v40, v4
	;; [unrolled: 1-line block ×4, first 2 shown]
	s_mov_b64 s[34:35], s[8:9]
	v_cmp_ne_u32_e32 vcc, 1, v2
                                        ; implicit-def: $vgpr53
	s_and_saveexec_b64 s[4:5], vcc
	s_xor_b64 s[36:37], exec, s[4:5]
	s_cbranch_execz .LBB5_6
; %bb.1:
	v_lshrrev_b32_e32 v0, 31, v2
	v_add_u32_e32 v0, v2, v0
	v_ashrrev_i32_e32 v45, 1, v0
	v_sub_u32_e32 v47, v2, v45
	s_getpc_b64 s[38:39]
	s_add_u32 s38, s38, _ZN3sop19sopFactorTrivialRecEPjiiPN8subgUtil4SubgILi256EEE@rel32@lo+4
	s_addc_u32 s39, s39, _ZN3sop19sopFactorTrivialRecEPjiiPN8subgUtil4SubgILi256EEE@rel32@hi+12
	s_mov_b64 s[8:9], s[34:35]
	v_mov_b32_e32 v0, v42
	v_mov_b32_e32 v1, v43
	;; [unrolled: 1-line block ×6, first 2 shown]
	s_swappc_b64 s[30:31], s[38:39]
	v_ashrrev_i32_e32 v46, 31, v45
	v_mov_b32_e32 v44, v0
	v_lshlrev_b64 v[0:1], 2, v[45:46]
	s_mov_b64 s[8:9], s[34:35]
	v_add_co_u32_e32 v0, vcc, v42, v0
	v_addc_co_u32_e32 v1, vcc, v43, v1, vcc
	v_mov_b32_e32 v2, v47
	v_mov_b32_e32 v3, v56
	;; [unrolled: 1-line block ×4, first 2 shown]
	s_swappc_b64 s[30:31], s[38:39]
	flat_load_dword v1, v[40:41]
	s_movk_i32 s4, 0xff
	s_mov_b64 s[26:27], 0
	s_waitcnt vmcnt(0) lgkmcnt(0)
	v_cmp_lt_i32_e32 vcc, s4, v1
	s_and_saveexec_b64 s[4:5], vcc
	s_xor_b64 s[28:29], exec, s[4:5]
	s_cbranch_execnz .LBB5_9
; %bb.2:
	s_or_saveexec_b64 s[28:29], s[28:29]
                                        ; implicit-def: $vgpr53
	s_xor_b64 exec, exec, s[28:29]
	s_cbranch_execnz .LBB5_10
.LBB5_3:
	s_or_b64 exec, exec, s[28:29]
	s_and_saveexec_b64 s[4:5], s[26:27]
.LBB5_4:
	; divergent unreachable
.LBB5_5:
	s_or_b64 exec, exec, s[4:5]
                                        ; implicit-def: $vgpr42_vgpr43
                                        ; implicit-def: $vgpr40
                                        ; implicit-def: $vgpr3
.LBB5_6:
	s_andn2_saveexec_b64 s[54:55], s[36:37]
	s_cbranch_execz .LBB5_8
; %bb.7:
	flat_load_dword v0, v[42:43]
	s_getpc_b64 s[4:5]
	s_add_u32 s4, s4, _ZN3sop23sopFactorTrivialCubeRecEjiiPN8subgUtil4SubgILi256EEE@rel32@lo+4
	s_addc_u32 s5, s5, _ZN3sop23sopFactorTrivialCubeRecEjiiPN8subgUtil4SubgILi256EEE@rel32@hi+12
	s_mov_b64 s[8:9], s[34:35]
	v_mov_b32_e32 v1, 0
	v_mov_b32_e32 v2, v3
	;; [unrolled: 1-line block ×4, first 2 shown]
	s_swappc_b64 s[30:31], s[4:5]
	v_mov_b32_e32 v53, v0
.LBB5_8:
	s_or_b64 exec, exec, s[54:55]
	buffer_load_dword v56, off, s[0:3], s33 ; 4-byte Folded Reload
	buffer_load_dword v47, off, s[0:3], s33 offset:4 ; 4-byte Folded Reload
	buffer_load_dword v46, off, s[0:3], s33 offset:8 ; 4-byte Folded Reload
	;; [unrolled: 1-line block ×8, first 2 shown]
	v_readlane_b32 s30, v57, 14
	v_mov_b32_e32 v0, v53
	v_readlane_b32 s31, v57, 15
	v_readlane_b32 s55, v57, 13
	;; [unrolled: 1-line block ×15, first 2 shown]
	s_mov_b32 s32, s33
	v_readlane_b32 s4, v57, 16
	s_or_saveexec_b64 s[6:7], -1
	buffer_load_dword v57, off, s[0:3], s33 offset:36 ; 4-byte Folded Reload
	s_mov_b64 exec, s[6:7]
	s_mov_b32 s33, s4
	s_waitcnt vmcnt(0) lgkmcnt(0)
	s_setpc_b64 s[30:31]
.LBB5_9:
	s_getpc_b64 s[4:5]
	s_add_u32 s4, s4, .str.43@rel32@lo+4
	s_addc_u32 s5, s5, .str.43@rel32@hi+12
	s_getpc_b64 s[6:7]
	s_add_u32 s6, s6, .str.44@rel32@lo+4
	s_addc_u32 s7, s7, .str.44@rel32@hi+12
	s_getpc_b64 s[10:11]
	s_add_u32 s10, s10, __PRETTY_FUNCTION__._ZN8subgUtil4SubgILi256EE9addNodeOrEii@rel32@lo+4
	s_addc_u32 s11, s11, __PRETTY_FUNCTION__._ZN8subgUtil4SubgILi256EE9addNodeOrEii@rel32@hi+12
	s_getpc_b64 s[12:13]
	s_add_u32 s12, s12, __assert_fail@rel32@lo+4
	s_addc_u32 s13, s13, __assert_fail@rel32@hi+12
	s_mov_b64 s[8:9], s[34:35]
	v_mov_b32_e32 v0, s4
	v_mov_b32_e32 v1, s5
	;; [unrolled: 1-line block ×7, first 2 shown]
	s_swappc_b64 s[30:31], s[12:13]
	s_mov_b64 s[26:27], exec
                                        ; implicit-def: $vgpr0
                                        ; implicit-def: $vgpr44
                                        ; implicit-def: $vgpr40_vgpr41
	s_or_saveexec_b64 s[28:29], s[28:29]
                                        ; implicit-def: $vgpr53
	s_xor_b64 exec, exec, s[28:29]
	s_cbranch_execz .LBB5_3
.LBB5_10:
	v_max_i32_e32 v3, v44, v0
	v_min_i32_e32 v36, v44, v0
	v_xor_b32_e32 v30, 1, v36
	v_xor_b32_e32 v33, 1, v3
	v_cmp_gt_i32_e64 s[4:5], v30, v33
	s_and_saveexec_b64 s[8:9], s[4:5]
	s_cbranch_execz .LBB5_199
; %bb.11:
	s_load_dwordx2 s[10:11], s[34:35], 0x50
	v_mbcnt_lo_u32_b32 v1, -1, 0
	v_mbcnt_hi_u32_b32 v35, -1, v1
	v_readfirstlane_b32 s6, v35
	v_mov_b32_e32 v1, 0
	v_mov_b32_e32 v2, 0
	v_cmp_eq_u32_e64 s[6:7], s6, v35
	s_and_saveexec_b64 s[12:13], s[6:7]
	s_cbranch_execz .LBB5_17
; %bb.12:
	v_mov_b32_e32 v4, 0
	s_waitcnt lgkmcnt(0)
	global_load_dwordx2 v[7:8], v4, s[10:11] offset:24 glc
	s_waitcnt vmcnt(0)
	buffer_wbinvl1_vol
	global_load_dwordx2 v[1:2], v4, s[10:11] offset:40
	global_load_dwordx2 v[5:6], v4, s[10:11]
	s_waitcnt vmcnt(1)
	v_and_b32_e32 v1, v1, v7
	v_and_b32_e32 v2, v2, v8
	v_mul_lo_u32 v2, v2, 24
	v_mul_hi_u32 v9, v1, 24
	v_mul_lo_u32 v1, v1, 24
	v_add_u32_e32 v2, v9, v2
	s_waitcnt vmcnt(0)
	v_add_co_u32_e32 v1, vcc, v5, v1
	v_addc_co_u32_e32 v2, vcc, v6, v2, vcc
	global_load_dwordx2 v[5:6], v[1:2], off glc
	s_waitcnt vmcnt(0)
	global_atomic_cmpswap_x2 v[1:2], v4, v[5:8], s[10:11] offset:24 glc
	s_waitcnt vmcnt(0)
	buffer_wbinvl1_vol
	v_cmp_ne_u64_e32 vcc, v[1:2], v[7:8]
	s_and_saveexec_b64 s[14:15], vcc
	s_cbranch_execz .LBB5_16
; %bb.13:
	s_mov_b64 s[16:17], 0
.LBB5_14:                               ; =>This Inner Loop Header: Depth=1
	s_sleep 1
	global_load_dwordx2 v[5:6], v4, s[10:11] offset:40
	global_load_dwordx2 v[9:10], v4, s[10:11]
	v_mov_b32_e32 v8, v2
	v_mov_b32_e32 v7, v1
	s_waitcnt vmcnt(1)
	v_and_b32_e32 v1, v5, v7
	s_waitcnt vmcnt(0)
	v_mad_u64_u32 v[1:2], s[18:19], v1, 24, v[9:10]
	v_and_b32_e32 v5, v6, v8
	v_mad_u64_u32 v[5:6], s[18:19], v5, 24, v[2:3]
	v_mov_b32_e32 v2, v5
	global_load_dwordx2 v[5:6], v[1:2], off glc
	s_waitcnt vmcnt(0)
	global_atomic_cmpswap_x2 v[1:2], v4, v[5:8], s[10:11] offset:24 glc
	s_waitcnt vmcnt(0)
	buffer_wbinvl1_vol
	v_cmp_eq_u64_e32 vcc, v[1:2], v[7:8]
	s_or_b64 s[16:17], vcc, s[16:17]
	s_andn2_b64 exec, exec, s[16:17]
	s_cbranch_execnz .LBB5_14
; %bb.15:
	s_or_b64 exec, exec, s[16:17]
.LBB5_16:
	s_or_b64 exec, exec, s[14:15]
.LBB5_17:
	s_or_b64 exec, exec, s[12:13]
	v_mov_b32_e32 v8, 0
	s_waitcnt lgkmcnt(0)
	global_load_dwordx2 v[9:10], v8, s[10:11] offset:40
	global_load_dwordx4 v[4:7], v8, s[10:11]
	v_readfirstlane_b32 s13, v2
	v_readfirstlane_b32 s12, v1
	s_mov_b64 s[14:15], exec
	s_waitcnt vmcnt(1)
	v_readfirstlane_b32 s16, v9
	v_readfirstlane_b32 s17, v10
	s_and_b64 s[16:17], s[16:17], s[12:13]
	s_mul_i32 s18, s17, 24
	s_mul_hi_u32 s19, s16, 24
	s_mul_i32 s20, s16, 24
	s_add_i32 s18, s19, s18
	v_mov_b32_e32 v2, s18
	s_waitcnt vmcnt(0)
	v_add_co_u32_e32 v1, vcc, s20, v4
	v_addc_co_u32_e32 v2, vcc, v5, v2, vcc
	s_and_saveexec_b64 s[18:19], s[6:7]
	s_cbranch_execz .LBB5_19
; %bb.18:
	v_mov_b32_e32 v9, s14
	v_mov_b32_e32 v10, s15
	;; [unrolled: 1-line block ×4, first 2 shown]
	global_store_dwordx4 v[1:2], v[9:12], off offset:8
.LBB5_19:
	s_or_b64 exec, exec, s[18:19]
	s_lshl_b64 s[14:15], s[16:17], 12
	v_mov_b32_e32 v9, s15
	v_add_co_u32_e32 v6, vcc, s14, v6
	v_addc_co_u32_e32 v13, vcc, v7, v9, vcc
	v_lshlrev_b32_e32 v34, 6, v35
	s_mov_b32 s16, 0
	v_mov_b32_e32 v7, 33
	v_mov_b32_e32 v9, v8
	;; [unrolled: 1-line block ×3, first 2 shown]
	v_readfirstlane_b32 s14, v6
	v_readfirstlane_b32 s15, v13
	v_add_co_u32_e32 v11, vcc, v6, v34
	s_mov_b32 s17, s16
	s_mov_b32 s18, s16
	;; [unrolled: 1-line block ×3, first 2 shown]
	s_nop 0
	global_store_dwordx4 v34, v[7:10], s[14:15]
	v_mov_b32_e32 v6, s16
	v_addc_co_u32_e32 v12, vcc, 0, v13, vcc
	v_mov_b32_e32 v7, s17
	v_mov_b32_e32 v8, s18
	;; [unrolled: 1-line block ×3, first 2 shown]
	global_store_dwordx4 v34, v[6:9], s[14:15] offset:16
	global_store_dwordx4 v34, v[6:9], s[14:15] offset:32
	;; [unrolled: 1-line block ×3, first 2 shown]
	s_and_saveexec_b64 s[14:15], s[6:7]
	s_cbranch_execz .LBB5_27
; %bb.20:
	v_mov_b32_e32 v10, 0
	global_load_dwordx2 v[15:16], v10, s[10:11] offset:32 glc
	global_load_dwordx2 v[6:7], v10, s[10:11] offset:40
	v_mov_b32_e32 v13, s12
	v_mov_b32_e32 v14, s13
	s_waitcnt vmcnt(0)
	v_and_b32_e32 v6, s12, v6
	v_and_b32_e32 v7, s13, v7
	v_mul_lo_u32 v7, v7, 24
	v_mul_hi_u32 v8, v6, 24
	v_mul_lo_u32 v6, v6, 24
	v_add_u32_e32 v7, v8, v7
	v_add_co_u32_e32 v8, vcc, v4, v6
	v_addc_co_u32_e32 v9, vcc, v5, v7, vcc
	global_store_dwordx2 v[8:9], v[15:16], off
	s_waitcnt vmcnt(0)
	global_atomic_cmpswap_x2 v[6:7], v10, v[13:16], s[10:11] offset:32 glc
	s_waitcnt vmcnt(0)
	v_cmp_ne_u64_e32 vcc, v[6:7], v[15:16]
	s_and_saveexec_b64 s[16:17], vcc
	s_cbranch_execz .LBB5_23
; %bb.21:
	s_mov_b64 s[18:19], 0
.LBB5_22:                               ; =>This Inner Loop Header: Depth=1
	s_sleep 1
	global_store_dwordx2 v[8:9], v[6:7], off
	v_mov_b32_e32 v4, s12
	v_mov_b32_e32 v5, s13
	s_waitcnt vmcnt(0)
	global_atomic_cmpswap_x2 v[4:5], v10, v[4:7], s[10:11] offset:32 glc
	s_waitcnt vmcnt(0)
	v_cmp_eq_u64_e32 vcc, v[4:5], v[6:7]
	v_mov_b32_e32 v7, v5
	s_or_b64 s[18:19], vcc, s[18:19]
	v_mov_b32_e32 v6, v4
	s_andn2_b64 exec, exec, s[18:19]
	s_cbranch_execnz .LBB5_22
.LBB5_23:
	s_or_b64 exec, exec, s[16:17]
	v_mov_b32_e32 v7, 0
	global_load_dwordx2 v[4:5], v7, s[10:11] offset:16
	s_mov_b64 s[16:17], exec
	v_mbcnt_lo_u32_b32 v6, s16, 0
	v_mbcnt_hi_u32_b32 v6, s17, v6
	v_cmp_eq_u32_e32 vcc, 0, v6
	s_and_saveexec_b64 s[18:19], vcc
	s_cbranch_execz .LBB5_25
; %bb.24:
	s_bcnt1_i32_b64 s16, s[16:17]
	v_mov_b32_e32 v6, s16
	s_waitcnt vmcnt(0)
	global_atomic_add_x2 v[4:5], v[6:7], off offset:8
.LBB5_25:
	s_or_b64 exec, exec, s[18:19]
	s_waitcnt vmcnt(0)
	global_load_dwordx2 v[6:7], v[4:5], off offset:16
	s_waitcnt vmcnt(0)
	v_cmp_eq_u64_e32 vcc, 0, v[6:7]
	s_cbranch_vccnz .LBB5_27
; %bb.26:
	global_load_dword v4, v[4:5], off offset:24
	v_mov_b32_e32 v5, 0
	s_waitcnt vmcnt(0)
	v_readfirstlane_b32 s16, v4
	s_and_b32 m0, s16, 0xffffff
	global_store_dwordx2 v[6:7], v[4:5], off
	s_sendmsg sendmsg(MSG_INTERRUPT)
.LBB5_27:
	s_or_b64 exec, exec, s[14:15]
	s_branch .LBB5_31
.LBB5_28:                               ;   in Loop: Header=BB5_31 Depth=1
	s_or_b64 exec, exec, s[14:15]
	v_readfirstlane_b32 s14, v4
	s_cmp_eq_u32 s14, 0
	s_cbranch_scc1 .LBB5_30
; %bb.29:                               ;   in Loop: Header=BB5_31 Depth=1
	s_sleep 1
	s_cbranch_execnz .LBB5_31
	s_branch .LBB5_33
.LBB5_30:
	s_branch .LBB5_33
.LBB5_31:                               ; =>This Inner Loop Header: Depth=1
	v_mov_b32_e32 v4, 1
	s_and_saveexec_b64 s[14:15], s[6:7]
	s_cbranch_execz .LBB5_28
; %bb.32:                               ;   in Loop: Header=BB5_31 Depth=1
	global_load_dword v4, v[1:2], off offset:20 glc
	s_waitcnt vmcnt(0)
	buffer_wbinvl1_vol
	v_and_b32_e32 v4, 1, v4
	s_branch .LBB5_28
.LBB5_33:
	global_load_dwordx2 v[4:5], v[11:12], off
	s_and_saveexec_b64 s[14:15], s[6:7]
	s_cbranch_execz .LBB5_36
; %bb.34:
	v_mov_b32_e32 v10, 0
	global_load_dwordx2 v[1:2], v10, s[10:11] offset:40
	global_load_dwordx2 v[13:14], v10, s[10:11] offset:24 glc
	global_load_dwordx2 v[6:7], v10, s[10:11]
	s_waitcnt vmcnt(2)
	v_readfirstlane_b32 s16, v1
	v_readfirstlane_b32 s17, v2
	s_add_u32 s18, s16, 1
	s_addc_u32 s19, s17, 0
	s_add_u32 s6, s18, s12
	s_addc_u32 s7, s19, s13
	s_cmp_eq_u64 s[6:7], 0
	s_cselect_b32 s7, s19, s7
	s_cselect_b32 s6, s18, s6
	s_and_b64 s[12:13], s[6:7], s[16:17]
	s_mul_i32 s13, s13, 24
	s_mul_hi_u32 s16, s12, 24
	s_mul_i32 s12, s12, 24
	s_add_i32 s13, s16, s13
	v_mov_b32_e32 v2, s13
	s_waitcnt vmcnt(0)
	v_add_co_u32_e32 v1, vcc, s12, v6
	v_addc_co_u32_e32 v2, vcc, v7, v2, vcc
	v_mov_b32_e32 v11, s6
	global_store_dwordx2 v[1:2], v[13:14], off
	v_mov_b32_e32 v12, s7
	s_waitcnt vmcnt(0)
	global_atomic_cmpswap_x2 v[8:9], v10, v[11:14], s[10:11] offset:24 glc
	s_mov_b64 s[12:13], 0
	s_waitcnt vmcnt(0)
	v_cmp_ne_u64_e32 vcc, v[8:9], v[13:14]
	s_and_b64 exec, exec, vcc
	s_cbranch_execz .LBB5_36
.LBB5_35:                               ; =>This Inner Loop Header: Depth=1
	s_sleep 1
	global_store_dwordx2 v[1:2], v[8:9], off
	v_mov_b32_e32 v6, s6
	v_mov_b32_e32 v7, s7
	s_waitcnt vmcnt(0)
	global_atomic_cmpswap_x2 v[6:7], v10, v[6:9], s[10:11] offset:24 glc
	s_waitcnt vmcnt(0)
	v_cmp_eq_u64_e32 vcc, v[6:7], v[8:9]
	v_mov_b32_e32 v9, v7
	s_or_b64 s[12:13], vcc, s[12:13]
	v_mov_b32_e32 v8, v6
	s_andn2_b64 exec, exec, s[12:13]
	s_cbranch_execnz .LBB5_35
.LBB5_36:
	s_or_b64 exec, exec, s[14:15]
	s_getpc_b64 s[12:13]
	s_add_u32 s12, s12, .str.45@rel32@lo+4
	s_addc_u32 s13, s13, .str.45@rel32@hi+12
	s_cmp_lg_u64 s[12:13], 0
	s_cbranch_scc0 .LBB5_122
; %bb.37:
	s_waitcnt vmcnt(0)
	v_and_b32_e32 v37, 2, v4
	v_mov_b32_e32 v2, 0
	v_and_b32_e32 v6, -3, v4
	v_mov_b32_e32 v7, v5
	s_mov_b64 s[14:15], 7
	v_mov_b32_e32 v12, 2
	v_mov_b32_e32 v13, 1
	s_branch .LBB5_39
.LBB5_38:                               ;   in Loop: Header=BB5_39 Depth=1
	s_or_b64 exec, exec, s[20:21]
	s_sub_u32 s14, s14, s16
	s_subb_u32 s15, s15, s17
	s_add_u32 s12, s12, s16
	s_addc_u32 s13, s13, s17
	s_cmp_lg_u64 s[14:15], 0
	s_cbranch_scc0 .LBB5_121
.LBB5_39:                               ; =>This Loop Header: Depth=1
                                        ;     Child Loop BB5_42 Depth 2
                                        ;     Child Loop BB5_50 Depth 2
	;; [unrolled: 1-line block ×11, first 2 shown]
	v_cmp_lt_u64_e64 s[6:7], s[14:15], 56
	v_cmp_gt_u64_e64 s[18:19], s[14:15], 7
	s_and_b64 s[6:7], s[6:7], exec
	s_cselect_b32 s17, s15, 0
	s_cselect_b32 s16, s14, 56
	s_add_u32 s6, s12, 8
	s_addc_u32 s7, s13, 0
	s_and_b64 vcc, exec, s[18:19]
	s_cbranch_vccnz .LBB5_43
; %bb.40:                               ;   in Loop: Header=BB5_39 Depth=1
	s_cmp_eq_u64 s[14:15], 0
	s_cbranch_scc1 .LBB5_44
; %bb.41:                               ;   in Loop: Header=BB5_39 Depth=1
	v_mov_b32_e32 v8, 0
	s_lshl_b64 s[6:7], s[16:17], 3
	s_mov_b64 s[18:19], 0
	v_mov_b32_e32 v9, 0
	s_mov_b64 s[20:21], s[12:13]
.LBB5_42:                               ;   Parent Loop BB5_39 Depth=1
                                        ; =>  This Inner Loop Header: Depth=2
	global_load_ubyte v1, v2, s[20:21]
	s_waitcnt vmcnt(0)
	v_and_b32_e32 v1, 0xffff, v1
	v_lshlrev_b64 v[10:11], s18, v[1:2]
	s_add_u32 s18, s18, 8
	s_addc_u32 s19, s19, 0
	s_add_u32 s20, s20, 1
	s_addc_u32 s21, s21, 0
	v_or_b32_e32 v8, v10, v8
	s_cmp_lg_u32 s6, s18
	v_or_b32_e32 v9, v11, v9
	s_cbranch_scc1 .LBB5_42
	s_branch .LBB5_45
.LBB5_43:                               ;   in Loop: Header=BB5_39 Depth=1
	s_mov_b32 s22, 0
	s_branch .LBB5_46
.LBB5_44:                               ;   in Loop: Header=BB5_39 Depth=1
	v_mov_b32_e32 v8, 0
	v_mov_b32_e32 v9, 0
.LBB5_45:                               ;   in Loop: Header=BB5_39 Depth=1
	s_mov_b64 s[6:7], s[12:13]
	s_mov_b32 s22, 0
	s_cbranch_execnz .LBB5_47
.LBB5_46:                               ;   in Loop: Header=BB5_39 Depth=1
	global_load_dwordx2 v[8:9], v2, s[12:13]
	s_add_i32 s22, s16, -8
.LBB5_47:                               ;   in Loop: Header=BB5_39 Depth=1
	s_add_u32 s18, s6, 8
	s_addc_u32 s19, s7, 0
	s_cmp_gt_u32 s22, 7
	s_cbranch_scc1 .LBB5_51
; %bb.48:                               ;   in Loop: Header=BB5_39 Depth=1
	s_cmp_eq_u32 s22, 0
	s_cbranch_scc1 .LBB5_52
; %bb.49:                               ;   in Loop: Header=BB5_39 Depth=1
	v_mov_b32_e32 v14, 0
	s_mov_b64 s[18:19], 0
	v_mov_b32_e32 v15, 0
	s_mov_b64 s[20:21], 0
.LBB5_50:                               ;   Parent Loop BB5_39 Depth=1
                                        ; =>  This Inner Loop Header: Depth=2
	s_add_u32 s24, s6, s20
	s_addc_u32 s25, s7, s21
	global_load_ubyte v1, v2, s[24:25]
	s_add_u32 s20, s20, 1
	s_addc_u32 s21, s21, 0
	s_waitcnt vmcnt(0)
	v_and_b32_e32 v1, 0xffff, v1
	v_lshlrev_b64 v[10:11], s18, v[1:2]
	s_add_u32 s18, s18, 8
	s_addc_u32 s19, s19, 0
	v_or_b32_e32 v14, v10, v14
	s_cmp_lg_u32 s22, s20
	v_or_b32_e32 v15, v11, v15
	s_cbranch_scc1 .LBB5_50
	s_branch .LBB5_53
.LBB5_51:                               ;   in Loop: Header=BB5_39 Depth=1
                                        ; implicit-def: $vgpr14_vgpr15
	s_mov_b32 s23, 0
	s_branch .LBB5_54
.LBB5_52:                               ;   in Loop: Header=BB5_39 Depth=1
	v_mov_b32_e32 v14, 0
	v_mov_b32_e32 v15, 0
.LBB5_53:                               ;   in Loop: Header=BB5_39 Depth=1
	s_mov_b64 s[18:19], s[6:7]
	s_mov_b32 s23, 0
	s_cbranch_execnz .LBB5_55
.LBB5_54:                               ;   in Loop: Header=BB5_39 Depth=1
	global_load_dwordx2 v[14:15], v2, s[6:7]
	s_add_i32 s23, s22, -8
.LBB5_55:                               ;   in Loop: Header=BB5_39 Depth=1
	s_add_u32 s6, s18, 8
	s_addc_u32 s7, s19, 0
	s_cmp_gt_u32 s23, 7
	s_cbranch_scc1 .LBB5_59
; %bb.56:                               ;   in Loop: Header=BB5_39 Depth=1
	s_cmp_eq_u32 s23, 0
	s_cbranch_scc1 .LBB5_60
; %bb.57:                               ;   in Loop: Header=BB5_39 Depth=1
	v_mov_b32_e32 v16, 0
	s_mov_b64 s[6:7], 0
	v_mov_b32_e32 v17, 0
	s_mov_b64 s[20:21], 0
.LBB5_58:                               ;   Parent Loop BB5_39 Depth=1
                                        ; =>  This Inner Loop Header: Depth=2
	s_add_u32 s24, s18, s20
	s_addc_u32 s25, s19, s21
	global_load_ubyte v1, v2, s[24:25]
	s_add_u32 s20, s20, 1
	s_addc_u32 s21, s21, 0
	s_waitcnt vmcnt(0)
	v_and_b32_e32 v1, 0xffff, v1
	v_lshlrev_b64 v[10:11], s6, v[1:2]
	s_add_u32 s6, s6, 8
	s_addc_u32 s7, s7, 0
	v_or_b32_e32 v16, v10, v16
	s_cmp_lg_u32 s23, s20
	v_or_b32_e32 v17, v11, v17
	s_cbranch_scc1 .LBB5_58
	s_branch .LBB5_61
.LBB5_59:                               ;   in Loop: Header=BB5_39 Depth=1
	s_mov_b32 s22, 0
	s_branch .LBB5_62
.LBB5_60:                               ;   in Loop: Header=BB5_39 Depth=1
	v_mov_b32_e32 v16, 0
	v_mov_b32_e32 v17, 0
.LBB5_61:                               ;   in Loop: Header=BB5_39 Depth=1
	s_mov_b64 s[6:7], s[18:19]
	s_mov_b32 s22, 0
	s_cbranch_execnz .LBB5_63
.LBB5_62:                               ;   in Loop: Header=BB5_39 Depth=1
	global_load_dwordx2 v[16:17], v2, s[18:19]
	s_add_i32 s22, s23, -8
.LBB5_63:                               ;   in Loop: Header=BB5_39 Depth=1
	s_add_u32 s18, s6, 8
	s_addc_u32 s19, s7, 0
	s_cmp_gt_u32 s22, 7
	s_cbranch_scc1 .LBB5_67
; %bb.64:                               ;   in Loop: Header=BB5_39 Depth=1
	s_cmp_eq_u32 s22, 0
	s_cbranch_scc1 .LBB5_68
; %bb.65:                               ;   in Loop: Header=BB5_39 Depth=1
	v_mov_b32_e32 v18, 0
	s_mov_b64 s[18:19], 0
	v_mov_b32_e32 v19, 0
	s_mov_b64 s[20:21], 0
.LBB5_66:                               ;   Parent Loop BB5_39 Depth=1
                                        ; =>  This Inner Loop Header: Depth=2
	s_add_u32 s24, s6, s20
	s_addc_u32 s25, s7, s21
	global_load_ubyte v1, v2, s[24:25]
	s_add_u32 s20, s20, 1
	s_addc_u32 s21, s21, 0
	s_waitcnt vmcnt(0)
	v_and_b32_e32 v1, 0xffff, v1
	v_lshlrev_b64 v[10:11], s18, v[1:2]
	s_add_u32 s18, s18, 8
	s_addc_u32 s19, s19, 0
	v_or_b32_e32 v18, v10, v18
	s_cmp_lg_u32 s22, s20
	v_or_b32_e32 v19, v11, v19
	s_cbranch_scc1 .LBB5_66
	s_branch .LBB5_69
.LBB5_67:                               ;   in Loop: Header=BB5_39 Depth=1
                                        ; implicit-def: $vgpr18_vgpr19
	s_mov_b32 s23, 0
	s_branch .LBB5_70
.LBB5_68:                               ;   in Loop: Header=BB5_39 Depth=1
	v_mov_b32_e32 v18, 0
	v_mov_b32_e32 v19, 0
.LBB5_69:                               ;   in Loop: Header=BB5_39 Depth=1
	s_mov_b64 s[18:19], s[6:7]
	s_mov_b32 s23, 0
	s_cbranch_execnz .LBB5_71
.LBB5_70:                               ;   in Loop: Header=BB5_39 Depth=1
	global_load_dwordx2 v[18:19], v2, s[6:7]
	s_add_i32 s23, s22, -8
.LBB5_71:                               ;   in Loop: Header=BB5_39 Depth=1
	s_add_u32 s6, s18, 8
	s_addc_u32 s7, s19, 0
	s_cmp_gt_u32 s23, 7
	s_cbranch_scc1 .LBB5_75
; %bb.72:                               ;   in Loop: Header=BB5_39 Depth=1
	s_cmp_eq_u32 s23, 0
	s_cbranch_scc1 .LBB5_76
; %bb.73:                               ;   in Loop: Header=BB5_39 Depth=1
	v_mov_b32_e32 v20, 0
	s_mov_b64 s[6:7], 0
	v_mov_b32_e32 v21, 0
	s_mov_b64 s[20:21], 0
.LBB5_74:                               ;   Parent Loop BB5_39 Depth=1
                                        ; =>  This Inner Loop Header: Depth=2
	s_add_u32 s24, s18, s20
	s_addc_u32 s25, s19, s21
	global_load_ubyte v1, v2, s[24:25]
	s_add_u32 s20, s20, 1
	s_addc_u32 s21, s21, 0
	s_waitcnt vmcnt(0)
	v_and_b32_e32 v1, 0xffff, v1
	v_lshlrev_b64 v[10:11], s6, v[1:2]
	s_add_u32 s6, s6, 8
	s_addc_u32 s7, s7, 0
	v_or_b32_e32 v20, v10, v20
	s_cmp_lg_u32 s23, s20
	v_or_b32_e32 v21, v11, v21
	s_cbranch_scc1 .LBB5_74
	s_branch .LBB5_77
.LBB5_75:                               ;   in Loop: Header=BB5_39 Depth=1
	s_mov_b32 s22, 0
	s_branch .LBB5_78
.LBB5_76:                               ;   in Loop: Header=BB5_39 Depth=1
	v_mov_b32_e32 v20, 0
	v_mov_b32_e32 v21, 0
.LBB5_77:                               ;   in Loop: Header=BB5_39 Depth=1
	s_mov_b64 s[6:7], s[18:19]
	s_mov_b32 s22, 0
	s_cbranch_execnz .LBB5_79
.LBB5_78:                               ;   in Loop: Header=BB5_39 Depth=1
	global_load_dwordx2 v[20:21], v2, s[18:19]
	s_add_i32 s22, s23, -8
.LBB5_79:                               ;   in Loop: Header=BB5_39 Depth=1
	s_add_u32 s18, s6, 8
	s_addc_u32 s19, s7, 0
	s_cmp_gt_u32 s22, 7
	s_cbranch_scc1 .LBB5_83
; %bb.80:                               ;   in Loop: Header=BB5_39 Depth=1
	s_cmp_eq_u32 s22, 0
	s_cbranch_scc1 .LBB5_84
; %bb.81:                               ;   in Loop: Header=BB5_39 Depth=1
	v_mov_b32_e32 v22, 0
	s_mov_b64 s[18:19], 0
	v_mov_b32_e32 v23, 0
	s_mov_b64 s[20:21], 0
.LBB5_82:                               ;   Parent Loop BB5_39 Depth=1
                                        ; =>  This Inner Loop Header: Depth=2
	s_add_u32 s24, s6, s20
	s_addc_u32 s25, s7, s21
	global_load_ubyte v1, v2, s[24:25]
	s_add_u32 s20, s20, 1
	s_addc_u32 s21, s21, 0
	s_waitcnt vmcnt(0)
	v_and_b32_e32 v1, 0xffff, v1
	v_lshlrev_b64 v[10:11], s18, v[1:2]
	s_add_u32 s18, s18, 8
	s_addc_u32 s19, s19, 0
	v_or_b32_e32 v22, v10, v22
	s_cmp_lg_u32 s22, s20
	v_or_b32_e32 v23, v11, v23
	s_cbranch_scc1 .LBB5_82
	s_branch .LBB5_85
.LBB5_83:                               ;   in Loop: Header=BB5_39 Depth=1
                                        ; implicit-def: $vgpr22_vgpr23
	s_mov_b32 s23, 0
	s_branch .LBB5_86
.LBB5_84:                               ;   in Loop: Header=BB5_39 Depth=1
	v_mov_b32_e32 v22, 0
	v_mov_b32_e32 v23, 0
.LBB5_85:                               ;   in Loop: Header=BB5_39 Depth=1
	s_mov_b64 s[18:19], s[6:7]
	s_mov_b32 s23, 0
	s_cbranch_execnz .LBB5_87
.LBB5_86:                               ;   in Loop: Header=BB5_39 Depth=1
	global_load_dwordx2 v[22:23], v2, s[6:7]
	s_add_i32 s23, s22, -8
.LBB5_87:                               ;   in Loop: Header=BB5_39 Depth=1
	s_cmp_gt_u32 s23, 7
	s_cbranch_scc1 .LBB5_91
; %bb.88:                               ;   in Loop: Header=BB5_39 Depth=1
	s_cmp_eq_u32 s23, 0
	s_cbranch_scc1 .LBB5_92
; %bb.89:                               ;   in Loop: Header=BB5_39 Depth=1
	v_mov_b32_e32 v24, 0
	s_mov_b64 s[6:7], 0
	v_mov_b32_e32 v25, 0
	s_mov_b64 s[20:21], s[18:19]
.LBB5_90:                               ;   Parent Loop BB5_39 Depth=1
                                        ; =>  This Inner Loop Header: Depth=2
	global_load_ubyte v1, v2, s[20:21]
	s_add_i32 s23, s23, -1
	s_waitcnt vmcnt(0)
	v_and_b32_e32 v1, 0xffff, v1
	v_lshlrev_b64 v[10:11], s6, v[1:2]
	s_add_u32 s6, s6, 8
	s_addc_u32 s7, s7, 0
	s_add_u32 s20, s20, 1
	s_addc_u32 s21, s21, 0
	v_or_b32_e32 v24, v10, v24
	s_cmp_lg_u32 s23, 0
	v_or_b32_e32 v25, v11, v25
	s_cbranch_scc1 .LBB5_90
	s_branch .LBB5_93
.LBB5_91:                               ;   in Loop: Header=BB5_39 Depth=1
	s_branch .LBB5_94
.LBB5_92:                               ;   in Loop: Header=BB5_39 Depth=1
	v_mov_b32_e32 v24, 0
	v_mov_b32_e32 v25, 0
.LBB5_93:                               ;   in Loop: Header=BB5_39 Depth=1
	s_cbranch_execnz .LBB5_95
.LBB5_94:                               ;   in Loop: Header=BB5_39 Depth=1
	global_load_dwordx2 v[24:25], v2, s[18:19]
.LBB5_95:                               ;   in Loop: Header=BB5_39 Depth=1
	v_readfirstlane_b32 s6, v35
	v_mov_b32_e32 v10, 0
	v_mov_b32_e32 v11, 0
	v_cmp_eq_u32_e64 s[6:7], s6, v35
	s_and_saveexec_b64 s[18:19], s[6:7]
	s_cbranch_execz .LBB5_101
; %bb.96:                               ;   in Loop: Header=BB5_39 Depth=1
	global_load_dwordx2 v[28:29], v2, s[10:11] offset:24 glc
	s_waitcnt vmcnt(0)
	buffer_wbinvl1_vol
	global_load_dwordx2 v[10:11], v2, s[10:11] offset:40
	global_load_dwordx2 v[26:27], v2, s[10:11]
	s_waitcnt vmcnt(1)
	v_and_b32_e32 v1, v10, v28
	v_and_b32_e32 v10, v11, v29
	v_mul_lo_u32 v10, v10, 24
	v_mul_hi_u32 v11, v1, 24
	v_mul_lo_u32 v1, v1, 24
	v_add_u32_e32 v11, v11, v10
	s_waitcnt vmcnt(0)
	v_add_co_u32_e32 v10, vcc, v26, v1
	v_addc_co_u32_e32 v11, vcc, v27, v11, vcc
	global_load_dwordx2 v[26:27], v[10:11], off glc
	s_waitcnt vmcnt(0)
	global_atomic_cmpswap_x2 v[10:11], v2, v[26:29], s[10:11] offset:24 glc
	s_waitcnt vmcnt(0)
	buffer_wbinvl1_vol
	v_cmp_ne_u64_e32 vcc, v[10:11], v[28:29]
	s_and_saveexec_b64 s[20:21], vcc
	s_cbranch_execz .LBB5_100
; %bb.97:                               ;   in Loop: Header=BB5_39 Depth=1
	s_mov_b64 s[22:23], 0
.LBB5_98:                               ;   Parent Loop BB5_39 Depth=1
                                        ; =>  This Inner Loop Header: Depth=2
	s_sleep 1
	global_load_dwordx2 v[26:27], v2, s[10:11] offset:40
	global_load_dwordx2 v[31:32], v2, s[10:11]
	v_mov_b32_e32 v29, v11
	v_mov_b32_e32 v28, v10
	s_waitcnt vmcnt(1)
	v_and_b32_e32 v1, v26, v28
	s_waitcnt vmcnt(0)
	v_mad_u64_u32 v[10:11], s[24:25], v1, 24, v[31:32]
	v_and_b32_e32 v26, v27, v29
	v_mov_b32_e32 v1, v11
	v_mad_u64_u32 v[26:27], s[24:25], v26, 24, v[1:2]
	v_mov_b32_e32 v11, v26
	global_load_dwordx2 v[26:27], v[10:11], off glc
	s_waitcnt vmcnt(0)
	global_atomic_cmpswap_x2 v[10:11], v2, v[26:29], s[10:11] offset:24 glc
	s_waitcnt vmcnt(0)
	buffer_wbinvl1_vol
	v_cmp_eq_u64_e32 vcc, v[10:11], v[28:29]
	s_or_b64 s[22:23], vcc, s[22:23]
	s_andn2_b64 exec, exec, s[22:23]
	s_cbranch_execnz .LBB5_98
; %bb.99:                               ;   in Loop: Header=BB5_39 Depth=1
	s_or_b64 exec, exec, s[22:23]
.LBB5_100:                              ;   in Loop: Header=BB5_39 Depth=1
	s_or_b64 exec, exec, s[20:21]
.LBB5_101:                              ;   in Loop: Header=BB5_39 Depth=1
	s_or_b64 exec, exec, s[18:19]
	global_load_dwordx2 v[31:32], v2, s[10:11] offset:40
	global_load_dwordx4 v[26:29], v2, s[10:11]
	v_readfirstlane_b32 s19, v11
	v_readfirstlane_b32 s18, v10
	s_mov_b64 s[20:21], exec
	s_waitcnt vmcnt(1)
	v_readfirstlane_b32 s22, v31
	v_readfirstlane_b32 s23, v32
	s_and_b64 s[22:23], s[22:23], s[18:19]
	s_mul_i32 s24, s23, 24
	s_mul_hi_u32 s25, s22, 24
	s_mul_i32 s40, s22, 24
	s_add_i32 s24, s25, s24
	v_mov_b32_e32 v1, s24
	s_waitcnt vmcnt(0)
	v_add_co_u32_e32 v31, vcc, s40, v26
	v_addc_co_u32_e32 v32, vcc, v27, v1, vcc
	s_and_saveexec_b64 s[24:25], s[6:7]
	s_cbranch_execz .LBB5_103
; %bb.102:                              ;   in Loop: Header=BB5_39 Depth=1
	v_mov_b32_e32 v10, s20
	v_mov_b32_e32 v11, s21
	global_store_dwordx4 v[31:32], v[10:13], off offset:8
.LBB5_103:                              ;   in Loop: Header=BB5_39 Depth=1
	s_or_b64 exec, exec, s[24:25]
	s_lshl_b64 s[20:21], s[22:23], 12
	v_mov_b32_e32 v1, s21
	v_add_co_u32_e32 v28, vcc, s20, v28
	v_addc_co_u32_e32 v29, vcc, v29, v1, vcc
	v_cmp_lt_u64_e64 vcc, s[14:15], 57
	s_lshl_b32 s20, s16, 2
	v_cndmask_b32_e32 v1, 0, v37, vcc
	s_add_i32 s20, s20, 28
	v_and_b32_e32 v6, 0xffffff1f, v6
	s_and_b32 s20, s20, 0x1e0
	v_or_b32_e32 v1, v6, v1
	v_or_b32_e32 v6, s20, v1
	v_readfirstlane_b32 s20, v28
	v_readfirstlane_b32 s21, v29
	s_nop 4
	global_store_dwordx4 v34, v[6:9], s[20:21]
	global_store_dwordx4 v34, v[14:17], s[20:21] offset:16
	global_store_dwordx4 v34, v[18:21], s[20:21] offset:32
	;; [unrolled: 1-line block ×3, first 2 shown]
	s_and_saveexec_b64 s[20:21], s[6:7]
	s_cbranch_execz .LBB5_111
; %bb.104:                              ;   in Loop: Header=BB5_39 Depth=1
	global_load_dwordx2 v[16:17], v2, s[10:11] offset:32 glc
	global_load_dwordx2 v[6:7], v2, s[10:11] offset:40
	v_mov_b32_e32 v14, s18
	v_mov_b32_e32 v15, s19
	s_waitcnt vmcnt(0)
	v_readfirstlane_b32 s22, v6
	v_readfirstlane_b32 s23, v7
	s_and_b64 s[22:23], s[22:23], s[18:19]
	s_mul_i32 s23, s23, 24
	s_mul_hi_u32 s24, s22, 24
	s_mul_i32 s22, s22, 24
	s_add_i32 s23, s24, s23
	v_mov_b32_e32 v1, s23
	v_add_co_u32_e32 v10, vcc, s22, v26
	v_addc_co_u32_e32 v11, vcc, v27, v1, vcc
	global_store_dwordx2 v[10:11], v[16:17], off
	s_waitcnt vmcnt(0)
	global_atomic_cmpswap_x2 v[8:9], v2, v[14:17], s[10:11] offset:32 glc
	s_waitcnt vmcnt(0)
	v_cmp_ne_u64_e32 vcc, v[8:9], v[16:17]
	s_and_saveexec_b64 s[22:23], vcc
	s_cbranch_execz .LBB5_107
; %bb.105:                              ;   in Loop: Header=BB5_39 Depth=1
	s_mov_b64 s[24:25], 0
.LBB5_106:                              ;   Parent Loop BB5_39 Depth=1
                                        ; =>  This Inner Loop Header: Depth=2
	s_sleep 1
	global_store_dwordx2 v[10:11], v[8:9], off
	v_mov_b32_e32 v6, s18
	v_mov_b32_e32 v7, s19
	s_waitcnt vmcnt(0)
	global_atomic_cmpswap_x2 v[6:7], v2, v[6:9], s[10:11] offset:32 glc
	s_waitcnt vmcnt(0)
	v_cmp_eq_u64_e32 vcc, v[6:7], v[8:9]
	v_mov_b32_e32 v9, v7
	s_or_b64 s[24:25], vcc, s[24:25]
	v_mov_b32_e32 v8, v6
	s_andn2_b64 exec, exec, s[24:25]
	s_cbranch_execnz .LBB5_106
.LBB5_107:                              ;   in Loop: Header=BB5_39 Depth=1
	s_or_b64 exec, exec, s[22:23]
	global_load_dwordx2 v[6:7], v2, s[10:11] offset:16
	s_mov_b64 s[24:25], exec
	v_mbcnt_lo_u32_b32 v1, s24, 0
	v_mbcnt_hi_u32_b32 v1, s25, v1
	v_cmp_eq_u32_e32 vcc, 0, v1
	s_and_saveexec_b64 s[22:23], vcc
	s_cbranch_execz .LBB5_109
; %bb.108:                              ;   in Loop: Header=BB5_39 Depth=1
	s_bcnt1_i32_b64 s24, s[24:25]
	v_mov_b32_e32 v1, s24
	s_waitcnt vmcnt(0)
	global_atomic_add_x2 v[6:7], v[1:2], off offset:8
.LBB5_109:                              ;   in Loop: Header=BB5_39 Depth=1
	s_or_b64 exec, exec, s[22:23]
	s_waitcnt vmcnt(0)
	global_load_dwordx2 v[8:9], v[6:7], off offset:16
	s_waitcnt vmcnt(0)
	v_cmp_eq_u64_e32 vcc, 0, v[8:9]
	s_cbranch_vccnz .LBB5_111
; %bb.110:                              ;   in Loop: Header=BB5_39 Depth=1
	global_load_dword v1, v[6:7], off offset:24
	s_waitcnt vmcnt(0)
	v_readfirstlane_b32 s22, v1
	s_and_b32 m0, s22, 0xffffff
	global_store_dwordx2 v[8:9], v[1:2], off
	s_sendmsg sendmsg(MSG_INTERRUPT)
.LBB5_111:                              ;   in Loop: Header=BB5_39 Depth=1
	s_or_b64 exec, exec, s[20:21]
	v_add_co_u32_e32 v6, vcc, v28, v34
	v_addc_co_u32_e32 v7, vcc, 0, v29, vcc
	s_branch .LBB5_115
.LBB5_112:                              ;   in Loop: Header=BB5_115 Depth=2
	s_or_b64 exec, exec, s[20:21]
	v_readfirstlane_b32 s20, v1
	s_cmp_eq_u32 s20, 0
	s_cbranch_scc1 .LBB5_114
; %bb.113:                              ;   in Loop: Header=BB5_115 Depth=2
	s_sleep 1
	s_cbranch_execnz .LBB5_115
	s_branch .LBB5_117
.LBB5_114:                              ;   in Loop: Header=BB5_39 Depth=1
	s_branch .LBB5_117
.LBB5_115:                              ;   Parent Loop BB5_39 Depth=1
                                        ; =>  This Inner Loop Header: Depth=2
	v_mov_b32_e32 v1, 1
	s_and_saveexec_b64 s[20:21], s[6:7]
	s_cbranch_execz .LBB5_112
; %bb.116:                              ;   in Loop: Header=BB5_115 Depth=2
	global_load_dword v1, v[31:32], off offset:20 glc
	s_waitcnt vmcnt(0)
	buffer_wbinvl1_vol
	v_and_b32_e32 v1, 1, v1
	s_branch .LBB5_112
.LBB5_117:                              ;   in Loop: Header=BB5_39 Depth=1
	global_load_dwordx2 v[6:7], v[6:7], off
	s_and_saveexec_b64 s[20:21], s[6:7]
	s_cbranch_execz .LBB5_38
; %bb.118:                              ;   in Loop: Header=BB5_39 Depth=1
	global_load_dwordx2 v[8:9], v2, s[10:11] offset:40
	global_load_dwordx2 v[18:19], v2, s[10:11] offset:24 glc
	global_load_dwordx2 v[10:11], v2, s[10:11]
	s_waitcnt vmcnt(2)
	v_readfirstlane_b32 s22, v8
	v_readfirstlane_b32 s23, v9
	s_add_u32 s24, s22, 1
	s_addc_u32 s25, s23, 0
	s_add_u32 s6, s24, s18
	s_addc_u32 s7, s25, s19
	s_cmp_eq_u64 s[6:7], 0
	s_cselect_b32 s7, s25, s7
	s_cselect_b32 s6, s24, s6
	s_and_b64 s[18:19], s[6:7], s[22:23]
	s_mul_i32 s19, s19, 24
	s_mul_hi_u32 s22, s18, 24
	s_mul_i32 s18, s18, 24
	s_add_i32 s19, s22, s19
	v_mov_b32_e32 v1, s19
	s_waitcnt vmcnt(0)
	v_add_co_u32_e32 v14, vcc, s18, v10
	v_addc_co_u32_e32 v15, vcc, v11, v1, vcc
	v_mov_b32_e32 v16, s6
	global_store_dwordx2 v[14:15], v[18:19], off
	v_mov_b32_e32 v17, s7
	s_waitcnt vmcnt(0)
	global_atomic_cmpswap_x2 v[10:11], v2, v[16:19], s[10:11] offset:24 glc
	s_waitcnt vmcnt(0)
	v_cmp_ne_u64_e32 vcc, v[10:11], v[18:19]
	s_and_b64 exec, exec, vcc
	s_cbranch_execz .LBB5_38
; %bb.119:                              ;   in Loop: Header=BB5_39 Depth=1
	s_mov_b64 s[18:19], 0
.LBB5_120:                              ;   Parent Loop BB5_39 Depth=1
                                        ; =>  This Inner Loop Header: Depth=2
	s_sleep 1
	global_store_dwordx2 v[14:15], v[10:11], off
	v_mov_b32_e32 v8, s6
	v_mov_b32_e32 v9, s7
	s_waitcnt vmcnt(0)
	global_atomic_cmpswap_x2 v[8:9], v2, v[8:11], s[10:11] offset:24 glc
	s_waitcnt vmcnt(0)
	v_cmp_eq_u64_e32 vcc, v[8:9], v[10:11]
	v_mov_b32_e32 v11, v9
	s_or_b64 s[18:19], vcc, s[18:19]
	v_mov_b32_e32 v10, v8
	s_andn2_b64 exec, exec, s[18:19]
	s_cbranch_execnz .LBB5_120
	s_branch .LBB5_38
.LBB5_121:
	s_branch .LBB5_149
.LBB5_122:
                                        ; implicit-def: $vgpr6_vgpr7
	s_cbranch_execz .LBB5_149
; %bb.123:
	v_readfirstlane_b32 s6, v35
	v_mov_b32_e32 v1, 0
	v_mov_b32_e32 v2, 0
	v_cmp_eq_u32_e64 s[6:7], s6, v35
	s_and_saveexec_b64 s[12:13], s[6:7]
	s_cbranch_execz .LBB5_129
; %bb.124:
	s_waitcnt vmcnt(0)
	v_mov_b32_e32 v6, 0
	global_load_dwordx2 v[9:10], v6, s[10:11] offset:24 glc
	s_waitcnt vmcnt(0)
	buffer_wbinvl1_vol
	global_load_dwordx2 v[1:2], v6, s[10:11] offset:40
	global_load_dwordx2 v[7:8], v6, s[10:11]
	s_waitcnt vmcnt(1)
	v_and_b32_e32 v1, v1, v9
	v_and_b32_e32 v2, v2, v10
	v_mul_lo_u32 v2, v2, 24
	v_mul_hi_u32 v11, v1, 24
	v_mul_lo_u32 v1, v1, 24
	v_add_u32_e32 v2, v11, v2
	s_waitcnt vmcnt(0)
	v_add_co_u32_e32 v1, vcc, v7, v1
	v_addc_co_u32_e32 v2, vcc, v8, v2, vcc
	global_load_dwordx2 v[7:8], v[1:2], off glc
	s_waitcnt vmcnt(0)
	global_atomic_cmpswap_x2 v[1:2], v6, v[7:10], s[10:11] offset:24 glc
	s_waitcnt vmcnt(0)
	buffer_wbinvl1_vol
	v_cmp_ne_u64_e32 vcc, v[1:2], v[9:10]
	s_and_saveexec_b64 s[14:15], vcc
	s_cbranch_execz .LBB5_128
; %bb.125:
	s_mov_b64 s[16:17], 0
.LBB5_126:                              ; =>This Inner Loop Header: Depth=1
	s_sleep 1
	global_load_dwordx2 v[7:8], v6, s[10:11] offset:40
	global_load_dwordx2 v[11:12], v6, s[10:11]
	v_mov_b32_e32 v10, v2
	v_mov_b32_e32 v9, v1
	s_waitcnt vmcnt(1)
	v_and_b32_e32 v1, v7, v9
	s_waitcnt vmcnt(0)
	v_mad_u64_u32 v[1:2], s[18:19], v1, 24, v[11:12]
	v_and_b32_e32 v7, v8, v10
	v_mad_u64_u32 v[7:8], s[18:19], v7, 24, v[2:3]
	v_mov_b32_e32 v2, v7
	global_load_dwordx2 v[7:8], v[1:2], off glc
	s_waitcnt vmcnt(0)
	global_atomic_cmpswap_x2 v[1:2], v6, v[7:10], s[10:11] offset:24 glc
	s_waitcnt vmcnt(0)
	buffer_wbinvl1_vol
	v_cmp_eq_u64_e32 vcc, v[1:2], v[9:10]
	s_or_b64 s[16:17], vcc, s[16:17]
	s_andn2_b64 exec, exec, s[16:17]
	s_cbranch_execnz .LBB5_126
; %bb.127:
	s_or_b64 exec, exec, s[16:17]
.LBB5_128:
	s_or_b64 exec, exec, s[14:15]
.LBB5_129:
	s_or_b64 exec, exec, s[12:13]
	s_waitcnt vmcnt(0)
	v_mov_b32_e32 v6, 0
	global_load_dwordx2 v[12:13], v6, s[10:11] offset:40
	global_load_dwordx4 v[8:11], v6, s[10:11]
	v_readfirstlane_b32 s13, v2
	v_readfirstlane_b32 s12, v1
	s_mov_b64 s[14:15], exec
	s_waitcnt vmcnt(1)
	v_readfirstlane_b32 s16, v12
	v_readfirstlane_b32 s17, v13
	s_and_b64 s[16:17], s[16:17], s[12:13]
	s_mul_i32 s18, s17, 24
	s_mul_hi_u32 s19, s16, 24
	s_mul_i32 s20, s16, 24
	s_add_i32 s18, s19, s18
	v_mov_b32_e32 v2, s18
	s_waitcnt vmcnt(0)
	v_add_co_u32_e32 v1, vcc, s20, v8
	v_addc_co_u32_e32 v2, vcc, v9, v2, vcc
	s_and_saveexec_b64 s[18:19], s[6:7]
	s_cbranch_execz .LBB5_131
; %bb.130:
	v_mov_b32_e32 v12, s14
	v_mov_b32_e32 v13, s15
	;; [unrolled: 1-line block ×4, first 2 shown]
	global_store_dwordx4 v[1:2], v[12:15], off offset:8
.LBB5_131:
	s_or_b64 exec, exec, s[18:19]
	s_lshl_b64 s[14:15], s[16:17], 12
	v_mov_b32_e32 v7, s15
	v_add_co_u32_e32 v12, vcc, s14, v10
	v_addc_co_u32_e32 v13, vcc, v11, v7, vcc
	s_movk_i32 s14, 0xff1f
	v_and_or_b32 v4, v4, s14, 32
	s_mov_b32 s16, 0
	v_mov_b32_e32 v7, v6
	v_readfirstlane_b32 s14, v12
	v_readfirstlane_b32 s15, v13
	v_add_co_u32_e32 v10, vcc, v12, v34
	s_mov_b32 s17, s16
	s_mov_b32 s18, s16
	;; [unrolled: 1-line block ×3, first 2 shown]
	s_nop 0
	global_store_dwordx4 v34, v[4:7], s[14:15]
	v_addc_co_u32_e32 v11, vcc, 0, v13, vcc
	v_mov_b32_e32 v4, s16
	v_mov_b32_e32 v5, s17
	v_mov_b32_e32 v6, s18
	v_mov_b32_e32 v7, s19
	global_store_dwordx4 v34, v[4:7], s[14:15] offset:16
	global_store_dwordx4 v34, v[4:7], s[14:15] offset:32
	;; [unrolled: 1-line block ×3, first 2 shown]
	s_and_saveexec_b64 s[14:15], s[6:7]
	s_cbranch_execz .LBB5_139
; %bb.132:
	v_mov_b32_e32 v12, 0
	global_load_dwordx2 v[15:16], v12, s[10:11] offset:32 glc
	global_load_dwordx2 v[4:5], v12, s[10:11] offset:40
	v_mov_b32_e32 v13, s12
	v_mov_b32_e32 v14, s13
	s_waitcnt vmcnt(0)
	v_readfirstlane_b32 s16, v4
	v_readfirstlane_b32 s17, v5
	s_and_b64 s[16:17], s[16:17], s[12:13]
	s_mul_i32 s17, s17, 24
	s_mul_hi_u32 s18, s16, 24
	s_mul_i32 s16, s16, 24
	s_add_i32 s17, s18, s17
	v_mov_b32_e32 v4, s17
	v_add_co_u32_e32 v8, vcc, s16, v8
	v_addc_co_u32_e32 v9, vcc, v9, v4, vcc
	global_store_dwordx2 v[8:9], v[15:16], off
	s_waitcnt vmcnt(0)
	global_atomic_cmpswap_x2 v[6:7], v12, v[13:16], s[10:11] offset:32 glc
	s_waitcnt vmcnt(0)
	v_cmp_ne_u64_e32 vcc, v[6:7], v[15:16]
	s_and_saveexec_b64 s[16:17], vcc
	s_cbranch_execz .LBB5_135
; %bb.133:
	s_mov_b64 s[18:19], 0
.LBB5_134:                              ; =>This Inner Loop Header: Depth=1
	s_sleep 1
	global_store_dwordx2 v[8:9], v[6:7], off
	v_mov_b32_e32 v4, s12
	v_mov_b32_e32 v5, s13
	s_waitcnt vmcnt(0)
	global_atomic_cmpswap_x2 v[4:5], v12, v[4:7], s[10:11] offset:32 glc
	s_waitcnt vmcnt(0)
	v_cmp_eq_u64_e32 vcc, v[4:5], v[6:7]
	v_mov_b32_e32 v7, v5
	s_or_b64 s[18:19], vcc, s[18:19]
	v_mov_b32_e32 v6, v4
	s_andn2_b64 exec, exec, s[18:19]
	s_cbranch_execnz .LBB5_134
.LBB5_135:
	s_or_b64 exec, exec, s[16:17]
	v_mov_b32_e32 v7, 0
	global_load_dwordx2 v[4:5], v7, s[10:11] offset:16
	s_mov_b64 s[16:17], exec
	v_mbcnt_lo_u32_b32 v6, s16, 0
	v_mbcnt_hi_u32_b32 v6, s17, v6
	v_cmp_eq_u32_e32 vcc, 0, v6
	s_and_saveexec_b64 s[18:19], vcc
	s_cbranch_execz .LBB5_137
; %bb.136:
	s_bcnt1_i32_b64 s16, s[16:17]
	v_mov_b32_e32 v6, s16
	s_waitcnt vmcnt(0)
	global_atomic_add_x2 v[4:5], v[6:7], off offset:8
.LBB5_137:
	s_or_b64 exec, exec, s[18:19]
	s_waitcnt vmcnt(0)
	global_load_dwordx2 v[6:7], v[4:5], off offset:16
	s_waitcnt vmcnt(0)
	v_cmp_eq_u64_e32 vcc, 0, v[6:7]
	s_cbranch_vccnz .LBB5_139
; %bb.138:
	global_load_dword v4, v[4:5], off offset:24
	v_mov_b32_e32 v5, 0
	s_waitcnt vmcnt(0)
	v_readfirstlane_b32 s16, v4
	s_and_b32 m0, s16, 0xffffff
	global_store_dwordx2 v[6:7], v[4:5], off
	s_sendmsg sendmsg(MSG_INTERRUPT)
.LBB5_139:
	s_or_b64 exec, exec, s[14:15]
	s_branch .LBB5_143
.LBB5_140:                              ;   in Loop: Header=BB5_143 Depth=1
	s_or_b64 exec, exec, s[14:15]
	v_readfirstlane_b32 s14, v4
	s_cmp_eq_u32 s14, 0
	s_cbranch_scc1 .LBB5_142
; %bb.141:                              ;   in Loop: Header=BB5_143 Depth=1
	s_sleep 1
	s_cbranch_execnz .LBB5_143
	s_branch .LBB5_145
.LBB5_142:
	s_branch .LBB5_145
.LBB5_143:                              ; =>This Inner Loop Header: Depth=1
	v_mov_b32_e32 v4, 1
	s_and_saveexec_b64 s[14:15], s[6:7]
	s_cbranch_execz .LBB5_140
; %bb.144:                              ;   in Loop: Header=BB5_143 Depth=1
	global_load_dword v4, v[1:2], off offset:20 glc
	s_waitcnt vmcnt(0)
	buffer_wbinvl1_vol
	v_and_b32_e32 v4, 1, v4
	s_branch .LBB5_140
.LBB5_145:
	global_load_dwordx2 v[6:7], v[10:11], off
	s_and_saveexec_b64 s[14:15], s[6:7]
	s_cbranch_execz .LBB5_148
; %bb.146:
	v_mov_b32_e32 v4, 0
	global_load_dwordx2 v[1:2], v4, s[10:11] offset:40
	global_load_dwordx2 v[12:13], v4, s[10:11] offset:24 glc
	global_load_dwordx2 v[8:9], v4, s[10:11]
	s_waitcnt vmcnt(2)
	v_readfirstlane_b32 s16, v1
	v_readfirstlane_b32 s17, v2
	s_add_u32 s18, s16, 1
	s_addc_u32 s19, s17, 0
	s_add_u32 s6, s18, s12
	s_addc_u32 s7, s19, s13
	s_cmp_eq_u64 s[6:7], 0
	s_cselect_b32 s7, s19, s7
	s_cselect_b32 s6, s18, s6
	s_and_b64 s[12:13], s[6:7], s[16:17]
	s_mul_i32 s13, s13, 24
	s_mul_hi_u32 s16, s12, 24
	s_mul_i32 s12, s12, 24
	s_add_i32 s13, s16, s13
	v_mov_b32_e32 v2, s13
	s_waitcnt vmcnt(0)
	v_add_co_u32_e32 v1, vcc, s12, v8
	v_addc_co_u32_e32 v2, vcc, v9, v2, vcc
	v_mov_b32_e32 v10, s6
	global_store_dwordx2 v[1:2], v[12:13], off
	v_mov_b32_e32 v11, s7
	s_waitcnt vmcnt(0)
	global_atomic_cmpswap_x2 v[10:11], v4, v[10:13], s[10:11] offset:24 glc
	s_mov_b64 s[12:13], 0
	s_waitcnt vmcnt(0)
	v_cmp_ne_u64_e32 vcc, v[10:11], v[12:13]
	s_and_b64 exec, exec, vcc
	s_cbranch_execz .LBB5_148
.LBB5_147:                              ; =>This Inner Loop Header: Depth=1
	s_sleep 1
	global_store_dwordx2 v[1:2], v[10:11], off
	v_mov_b32_e32 v8, s6
	v_mov_b32_e32 v9, s7
	s_waitcnt vmcnt(0)
	global_atomic_cmpswap_x2 v[8:9], v4, v[8:11], s[10:11] offset:24 glc
	s_waitcnt vmcnt(0)
	v_cmp_eq_u64_e32 vcc, v[8:9], v[10:11]
	v_mov_b32_e32 v11, v9
	s_or_b64 s[12:13], vcc, s[12:13]
	v_mov_b32_e32 v10, v8
	s_andn2_b64 exec, exec, s[12:13]
	s_cbranch_execnz .LBB5_147
.LBB5_148:
	s_or_b64 exec, exec, s[14:15]
.LBB5_149:
	v_readfirstlane_b32 s6, v35
	v_mov_b32_e32 v1, 0
	v_mov_b32_e32 v2, 0
	v_cmp_eq_u32_e64 s[6:7], s6, v35
	s_and_saveexec_b64 s[12:13], s[6:7]
	s_cbranch_execz .LBB5_155
; %bb.150:
	s_waitcnt vmcnt(0)
	v_mov_b32_e32 v4, 0
	global_load_dwordx2 v[10:11], v4, s[10:11] offset:24 glc
	s_waitcnt vmcnt(0)
	buffer_wbinvl1_vol
	global_load_dwordx2 v[1:2], v4, s[10:11] offset:40
	global_load_dwordx2 v[8:9], v4, s[10:11]
	s_waitcnt vmcnt(1)
	v_and_b32_e32 v1, v1, v10
	v_and_b32_e32 v2, v2, v11
	v_mul_lo_u32 v2, v2, 24
	v_mul_hi_u32 v5, v1, 24
	v_mul_lo_u32 v1, v1, 24
	v_add_u32_e32 v2, v5, v2
	s_waitcnt vmcnt(0)
	v_add_co_u32_e32 v1, vcc, v8, v1
	v_addc_co_u32_e32 v2, vcc, v9, v2, vcc
	global_load_dwordx2 v[8:9], v[1:2], off glc
	s_waitcnt vmcnt(0)
	global_atomic_cmpswap_x2 v[1:2], v4, v[8:11], s[10:11] offset:24 glc
	s_waitcnt vmcnt(0)
	buffer_wbinvl1_vol
	v_cmp_ne_u64_e32 vcc, v[1:2], v[10:11]
	s_and_saveexec_b64 s[14:15], vcc
	s_cbranch_execz .LBB5_154
; %bb.151:
	s_mov_b64 s[16:17], 0
.LBB5_152:                              ; =>This Inner Loop Header: Depth=1
	s_sleep 1
	global_load_dwordx2 v[8:9], v4, s[10:11] offset:40
	global_load_dwordx2 v[12:13], v4, s[10:11]
	v_mov_b32_e32 v11, v2
	v_mov_b32_e32 v10, v1
	s_waitcnt vmcnt(1)
	v_and_b32_e32 v1, v8, v10
	s_waitcnt vmcnt(0)
	v_mad_u64_u32 v[1:2], s[18:19], v1, 24, v[12:13]
	v_and_b32_e32 v5, v9, v11
	v_mad_u64_u32 v[8:9], s[18:19], v5, 24, v[2:3]
	v_mov_b32_e32 v2, v8
	global_load_dwordx2 v[8:9], v[1:2], off glc
	s_waitcnt vmcnt(0)
	global_atomic_cmpswap_x2 v[1:2], v4, v[8:11], s[10:11] offset:24 glc
	s_waitcnt vmcnt(0)
	buffer_wbinvl1_vol
	v_cmp_eq_u64_e32 vcc, v[1:2], v[10:11]
	s_or_b64 s[16:17], vcc, s[16:17]
	s_andn2_b64 exec, exec, s[16:17]
	s_cbranch_execnz .LBB5_152
; %bb.153:
	s_or_b64 exec, exec, s[16:17]
.LBB5_154:
	s_or_b64 exec, exec, s[14:15]
.LBB5_155:
	s_or_b64 exec, exec, s[12:13]
	v_mov_b32_e32 v9, 0
	global_load_dwordx2 v[4:5], v9, s[10:11] offset:40
	global_load_dwordx4 v[10:13], v9, s[10:11]
	v_readfirstlane_b32 s13, v2
	v_readfirstlane_b32 s12, v1
	s_mov_b64 s[14:15], exec
	s_waitcnt vmcnt(1)
	v_readfirstlane_b32 s16, v4
	v_readfirstlane_b32 s17, v5
	s_and_b64 s[16:17], s[16:17], s[12:13]
	s_mul_i32 s18, s17, 24
	s_mul_hi_u32 s19, s16, 24
	s_mul_i32 s20, s16, 24
	s_add_i32 s18, s19, s18
	v_mov_b32_e32 v2, s18
	s_waitcnt vmcnt(0)
	v_add_co_u32_e32 v1, vcc, s20, v10
	v_addc_co_u32_e32 v2, vcc, v11, v2, vcc
	s_and_saveexec_b64 s[18:19], s[6:7]
	s_cbranch_execz .LBB5_157
; %bb.156:
	v_mov_b32_e32 v14, s14
	v_mov_b32_e32 v15, s15
	v_mov_b32_e32 v16, 2
	v_mov_b32_e32 v17, 1
	global_store_dwordx4 v[1:2], v[14:17], off offset:8
.LBB5_157:
	s_or_b64 exec, exec, s[18:19]
	s_lshl_b64 s[14:15], s[16:17], 12
	v_mov_b32_e32 v4, s15
	v_add_co_u32_e32 v5, vcc, s14, v12
	v_addc_co_u32_e32 v4, vcc, v13, v4, vcc
	s_movk_i32 s14, 0xff1f
	v_and_or_b32 v6, v6, s14, 32
	v_add_co_u32_e32 v12, vcc, v5, v34
	v_mov_b32_e32 v8, v36
	v_readfirstlane_b32 s14, v5
	v_readfirstlane_b32 s15, v4
	s_mov_b32 s16, 0
	v_addc_co_u32_e32 v13, vcc, 0, v4, vcc
	s_mov_b32 s17, s16
	s_mov_b32 s18, s16
	s_nop 0
	global_store_dwordx4 v34, v[6:9], s[14:15]
	s_mov_b32 s19, s16
	v_mov_b32_e32 v4, s16
	v_mov_b32_e32 v5, s17
	;; [unrolled: 1-line block ×4, first 2 shown]
	global_store_dwordx4 v34, v[4:7], s[14:15] offset:16
	global_store_dwordx4 v34, v[4:7], s[14:15] offset:32
	;; [unrolled: 1-line block ×3, first 2 shown]
	s_and_saveexec_b64 s[14:15], s[6:7]
	s_cbranch_execz .LBB5_165
; %bb.158:
	v_mov_b32_e32 v14, 0
	global_load_dwordx2 v[17:18], v14, s[10:11] offset:32 glc
	global_load_dwordx2 v[4:5], v14, s[10:11] offset:40
	v_mov_b32_e32 v15, s12
	v_mov_b32_e32 v16, s13
	s_waitcnt vmcnt(0)
	v_readfirstlane_b32 s16, v4
	v_readfirstlane_b32 s17, v5
	s_and_b64 s[16:17], s[16:17], s[12:13]
	s_mul_i32 s17, s17, 24
	s_mul_hi_u32 s18, s16, 24
	s_mul_i32 s16, s16, 24
	s_add_i32 s17, s18, s17
	v_mov_b32_e32 v4, s17
	v_add_co_u32_e32 v8, vcc, s16, v10
	v_addc_co_u32_e32 v9, vcc, v11, v4, vcc
	global_store_dwordx2 v[8:9], v[17:18], off
	s_waitcnt vmcnt(0)
	global_atomic_cmpswap_x2 v[6:7], v14, v[15:18], s[10:11] offset:32 glc
	s_waitcnt vmcnt(0)
	v_cmp_ne_u64_e32 vcc, v[6:7], v[17:18]
	s_and_saveexec_b64 s[16:17], vcc
	s_cbranch_execz .LBB5_161
; %bb.159:
	s_mov_b64 s[18:19], 0
.LBB5_160:                              ; =>This Inner Loop Header: Depth=1
	s_sleep 1
	global_store_dwordx2 v[8:9], v[6:7], off
	v_mov_b32_e32 v4, s12
	v_mov_b32_e32 v5, s13
	s_waitcnt vmcnt(0)
	global_atomic_cmpswap_x2 v[4:5], v14, v[4:7], s[10:11] offset:32 glc
	s_waitcnt vmcnt(0)
	v_cmp_eq_u64_e32 vcc, v[4:5], v[6:7]
	v_mov_b32_e32 v7, v5
	s_or_b64 s[18:19], vcc, s[18:19]
	v_mov_b32_e32 v6, v4
	s_andn2_b64 exec, exec, s[18:19]
	s_cbranch_execnz .LBB5_160
.LBB5_161:
	s_or_b64 exec, exec, s[16:17]
	v_mov_b32_e32 v7, 0
	global_load_dwordx2 v[4:5], v7, s[10:11] offset:16
	s_mov_b64 s[16:17], exec
	v_mbcnt_lo_u32_b32 v6, s16, 0
	v_mbcnt_hi_u32_b32 v6, s17, v6
	v_cmp_eq_u32_e32 vcc, 0, v6
	s_and_saveexec_b64 s[18:19], vcc
	s_cbranch_execz .LBB5_163
; %bb.162:
	s_bcnt1_i32_b64 s16, s[16:17]
	v_mov_b32_e32 v6, s16
	s_waitcnt vmcnt(0)
	global_atomic_add_x2 v[4:5], v[6:7], off offset:8
.LBB5_163:
	s_or_b64 exec, exec, s[18:19]
	s_waitcnt vmcnt(0)
	global_load_dwordx2 v[6:7], v[4:5], off offset:16
	s_waitcnt vmcnt(0)
	v_cmp_eq_u64_e32 vcc, 0, v[6:7]
	s_cbranch_vccnz .LBB5_165
; %bb.164:
	global_load_dword v4, v[4:5], off offset:24
	v_mov_b32_e32 v5, 0
	s_waitcnt vmcnt(0)
	v_readfirstlane_b32 s16, v4
	s_and_b32 m0, s16, 0xffffff
	global_store_dwordx2 v[6:7], v[4:5], off
	s_sendmsg sendmsg(MSG_INTERRUPT)
.LBB5_165:
	s_or_b64 exec, exec, s[14:15]
	s_branch .LBB5_169
.LBB5_166:                              ;   in Loop: Header=BB5_169 Depth=1
	s_or_b64 exec, exec, s[14:15]
	v_readfirstlane_b32 s14, v4
	s_cmp_eq_u32 s14, 0
	s_cbranch_scc1 .LBB5_168
; %bb.167:                              ;   in Loop: Header=BB5_169 Depth=1
	s_sleep 1
	s_cbranch_execnz .LBB5_169
	s_branch .LBB5_171
.LBB5_168:
	s_branch .LBB5_171
.LBB5_169:                              ; =>This Inner Loop Header: Depth=1
	v_mov_b32_e32 v4, 1
	s_and_saveexec_b64 s[14:15], s[6:7]
	s_cbranch_execz .LBB5_166
; %bb.170:                              ;   in Loop: Header=BB5_169 Depth=1
	global_load_dword v4, v[1:2], off offset:20 glc
	s_waitcnt vmcnt(0)
	buffer_wbinvl1_vol
	v_and_b32_e32 v4, 1, v4
	s_branch .LBB5_166
.LBB5_171:
	global_load_dwordx2 v[1:2], v[12:13], off
	s_and_saveexec_b64 s[14:15], s[6:7]
	s_cbranch_execz .LBB5_174
; %bb.172:
	v_mov_b32_e32 v10, 0
	global_load_dwordx2 v[4:5], v10, s[10:11] offset:40
	global_load_dwordx2 v[13:14], v10, s[10:11] offset:24 glc
	global_load_dwordx2 v[6:7], v10, s[10:11]
	s_waitcnt vmcnt(2)
	v_readfirstlane_b32 s16, v4
	v_readfirstlane_b32 s17, v5
	s_add_u32 s18, s16, 1
	s_addc_u32 s19, s17, 0
	s_add_u32 s6, s18, s12
	s_addc_u32 s7, s19, s13
	s_cmp_eq_u64 s[6:7], 0
	s_cselect_b32 s7, s19, s7
	s_cselect_b32 s6, s18, s6
	s_and_b64 s[12:13], s[6:7], s[16:17]
	s_mul_i32 s13, s13, 24
	s_mul_hi_u32 s16, s12, 24
	s_mul_i32 s12, s12, 24
	s_add_i32 s13, s16, s13
	v_mov_b32_e32 v4, s13
	s_waitcnt vmcnt(0)
	v_add_co_u32_e32 v8, vcc, s12, v6
	v_addc_co_u32_e32 v9, vcc, v7, v4, vcc
	v_mov_b32_e32 v11, s6
	global_store_dwordx2 v[8:9], v[13:14], off
	v_mov_b32_e32 v12, s7
	s_waitcnt vmcnt(0)
	global_atomic_cmpswap_x2 v[6:7], v10, v[11:14], s[10:11] offset:24 glc
	s_mov_b64 s[12:13], 0
	s_waitcnt vmcnt(0)
	v_cmp_ne_u64_e32 vcc, v[6:7], v[13:14]
	s_and_b64 exec, exec, vcc
	s_cbranch_execz .LBB5_174
.LBB5_173:                              ; =>This Inner Loop Header: Depth=1
	s_sleep 1
	global_store_dwordx2 v[8:9], v[6:7], off
	v_mov_b32_e32 v4, s6
	v_mov_b32_e32 v5, s7
	s_waitcnt vmcnt(0)
	global_atomic_cmpswap_x2 v[4:5], v10, v[4:7], s[10:11] offset:24 glc
	s_waitcnt vmcnt(0)
	v_cmp_eq_u64_e32 vcc, v[4:5], v[6:7]
	v_mov_b32_e32 v7, v5
	s_or_b64 s[12:13], vcc, s[12:13]
	v_mov_b32_e32 v6, v4
	s_andn2_b64 exec, exec, s[12:13]
	s_cbranch_execnz .LBB5_173
.LBB5_174:
	s_or_b64 exec, exec, s[14:15]
	v_readfirstlane_b32 s6, v35
	v_mov_b32_e32 v9, 0
	v_mov_b32_e32 v10, 0
	v_cmp_eq_u32_e64 s[6:7], s6, v35
	s_and_saveexec_b64 s[12:13], s[6:7]
	s_cbranch_execz .LBB5_180
; %bb.175:
	v_mov_b32_e32 v4, 0
	global_load_dwordx2 v[7:8], v4, s[10:11] offset:24 glc
	s_waitcnt vmcnt(0)
	buffer_wbinvl1_vol
	global_load_dwordx2 v[5:6], v4, s[10:11] offset:40
	global_load_dwordx2 v[9:10], v4, s[10:11]
	s_waitcnt vmcnt(1)
	v_and_b32_e32 v5, v5, v7
	v_and_b32_e32 v6, v6, v8
	v_mul_lo_u32 v6, v6, 24
	v_mul_hi_u32 v11, v5, 24
	v_mul_lo_u32 v5, v5, 24
	v_add_u32_e32 v6, v11, v6
	s_waitcnt vmcnt(0)
	v_add_co_u32_e32 v5, vcc, v9, v5
	v_addc_co_u32_e32 v6, vcc, v10, v6, vcc
	global_load_dwordx2 v[5:6], v[5:6], off glc
	s_waitcnt vmcnt(0)
	global_atomic_cmpswap_x2 v[9:10], v4, v[5:8], s[10:11] offset:24 glc
	s_waitcnt vmcnt(0)
	buffer_wbinvl1_vol
	v_cmp_ne_u64_e32 vcc, v[9:10], v[7:8]
	s_and_saveexec_b64 s[14:15], vcc
	s_cbranch_execz .LBB5_179
; %bb.176:
	s_mov_b64 s[16:17], 0
.LBB5_177:                              ; =>This Inner Loop Header: Depth=1
	s_sleep 1
	global_load_dwordx2 v[5:6], v4, s[10:11] offset:40
	global_load_dwordx2 v[11:12], v4, s[10:11]
	v_mov_b32_e32 v7, v9
	v_mov_b32_e32 v8, v10
	s_waitcnt vmcnt(1)
	v_and_b32_e32 v5, v5, v7
	s_waitcnt vmcnt(0)
	v_mad_u64_u32 v[9:10], s[18:19], v5, 24, v[11:12]
	v_and_b32_e32 v6, v6, v8
	v_mov_b32_e32 v5, v10
	v_mad_u64_u32 v[5:6], s[18:19], v6, 24, v[5:6]
	v_mov_b32_e32 v10, v5
	global_load_dwordx2 v[5:6], v[9:10], off glc
	s_waitcnt vmcnt(0)
	global_atomic_cmpswap_x2 v[9:10], v4, v[5:8], s[10:11] offset:24 glc
	s_waitcnt vmcnt(0)
	buffer_wbinvl1_vol
	v_cmp_eq_u64_e32 vcc, v[9:10], v[7:8]
	s_or_b64 s[16:17], vcc, s[16:17]
	s_andn2_b64 exec, exec, s[16:17]
	s_cbranch_execnz .LBB5_177
; %bb.178:
	s_or_b64 exec, exec, s[16:17]
.LBB5_179:
	s_or_b64 exec, exec, s[14:15]
.LBB5_180:
	s_or_b64 exec, exec, s[12:13]
	v_mov_b32_e32 v4, 0
	global_load_dwordx2 v[11:12], v4, s[10:11] offset:40
	global_load_dwordx4 v[5:8], v4, s[10:11]
	v_readfirstlane_b32 s13, v10
	v_readfirstlane_b32 s12, v9
	s_mov_b64 s[14:15], exec
	s_waitcnt vmcnt(1)
	v_readfirstlane_b32 s16, v11
	v_readfirstlane_b32 s17, v12
	s_and_b64 s[16:17], s[16:17], s[12:13]
	s_mul_i32 s18, s17, 24
	s_mul_hi_u32 s19, s16, 24
	s_mul_i32 s20, s16, 24
	s_add_i32 s18, s19, s18
	v_mov_b32_e32 v10, s18
	s_waitcnt vmcnt(0)
	v_add_co_u32_e32 v9, vcc, s20, v5
	v_addc_co_u32_e32 v10, vcc, v6, v10, vcc
	s_and_saveexec_b64 s[18:19], s[6:7]
	s_cbranch_execz .LBB5_182
; %bb.181:
	v_mov_b32_e32 v11, s14
	v_mov_b32_e32 v12, s15
	;; [unrolled: 1-line block ×4, first 2 shown]
	global_store_dwordx4 v[9:10], v[11:14], off offset:8
.LBB5_182:
	s_or_b64 exec, exec, s[18:19]
	s_lshl_b64 s[14:15], s[16:17], 12
	v_mov_b32_e32 v11, s15
	v_add_co_u32_e32 v7, vcc, s14, v7
	v_addc_co_u32_e32 v8, vcc, v8, v11, vcc
	s_movk_i32 s14, 0xff1d
	v_and_or_b32 v1, v1, s14, 34
	v_readfirstlane_b32 s14, v7
	v_readfirstlane_b32 s15, v8
	s_mov_b32 s16, 0
	s_mov_b32 s17, s16
	s_mov_b32 s18, s16
	s_mov_b32 s19, s16
	s_nop 0
	global_store_dwordx4 v34, v[1:4], s[14:15]
	s_nop 0
	v_mov_b32_e32 v1, s16
	v_mov_b32_e32 v2, s17
	;; [unrolled: 1-line block ×4, first 2 shown]
	global_store_dwordx4 v34, v[1:4], s[14:15] offset:16
	global_store_dwordx4 v34, v[1:4], s[14:15] offset:32
	;; [unrolled: 1-line block ×3, first 2 shown]
	s_and_saveexec_b64 s[14:15], s[6:7]
	s_cbranch_execz .LBB5_190
; %bb.183:
	v_mov_b32_e32 v7, 0
	global_load_dwordx2 v[13:14], v7, s[10:11] offset:32 glc
	global_load_dwordx2 v[1:2], v7, s[10:11] offset:40
	v_mov_b32_e32 v11, s12
	v_mov_b32_e32 v12, s13
	s_waitcnt vmcnt(0)
	v_readfirstlane_b32 s16, v1
	v_readfirstlane_b32 s17, v2
	s_and_b64 s[16:17], s[16:17], s[12:13]
	s_mul_i32 s17, s17, 24
	s_mul_hi_u32 s18, s16, 24
	s_mul_i32 s16, s16, 24
	s_add_i32 s17, s18, s17
	v_mov_b32_e32 v1, s17
	v_add_co_u32_e32 v5, vcc, s16, v5
	v_addc_co_u32_e32 v6, vcc, v6, v1, vcc
	global_store_dwordx2 v[5:6], v[13:14], off
	s_waitcnt vmcnt(0)
	global_atomic_cmpswap_x2 v[3:4], v7, v[11:14], s[10:11] offset:32 glc
	s_waitcnt vmcnt(0)
	v_cmp_ne_u64_e32 vcc, v[3:4], v[13:14]
	s_and_saveexec_b64 s[16:17], vcc
	s_cbranch_execz .LBB5_186
; %bb.184:
	s_mov_b64 s[18:19], 0
.LBB5_185:                              ; =>This Inner Loop Header: Depth=1
	s_sleep 1
	global_store_dwordx2 v[5:6], v[3:4], off
	v_mov_b32_e32 v1, s12
	v_mov_b32_e32 v2, s13
	s_waitcnt vmcnt(0)
	global_atomic_cmpswap_x2 v[1:2], v7, v[1:4], s[10:11] offset:32 glc
	s_waitcnt vmcnt(0)
	v_cmp_eq_u64_e32 vcc, v[1:2], v[3:4]
	v_mov_b32_e32 v4, v2
	s_or_b64 s[18:19], vcc, s[18:19]
	v_mov_b32_e32 v3, v1
	s_andn2_b64 exec, exec, s[18:19]
	s_cbranch_execnz .LBB5_185
.LBB5_186:
	s_or_b64 exec, exec, s[16:17]
	v_mov_b32_e32 v4, 0
	global_load_dwordx2 v[1:2], v4, s[10:11] offset:16
	s_mov_b64 s[16:17], exec
	v_mbcnt_lo_u32_b32 v3, s16, 0
	v_mbcnt_hi_u32_b32 v3, s17, v3
	v_cmp_eq_u32_e32 vcc, 0, v3
	s_and_saveexec_b64 s[18:19], vcc
	s_cbranch_execz .LBB5_188
; %bb.187:
	s_bcnt1_i32_b64 s16, s[16:17]
	v_mov_b32_e32 v3, s16
	s_waitcnt vmcnt(0)
	global_atomic_add_x2 v[1:2], v[3:4], off offset:8
.LBB5_188:
	s_or_b64 exec, exec, s[18:19]
	s_waitcnt vmcnt(0)
	global_load_dwordx2 v[3:4], v[1:2], off offset:16
	s_waitcnt vmcnt(0)
	v_cmp_eq_u64_e32 vcc, 0, v[3:4]
	s_cbranch_vccnz .LBB5_190
; %bb.189:
	global_load_dword v1, v[1:2], off offset:24
	v_mov_b32_e32 v2, 0
	s_waitcnt vmcnt(0)
	v_readfirstlane_b32 s16, v1
	s_and_b32 m0, s16, 0xffffff
	global_store_dwordx2 v[3:4], v[1:2], off
	s_sendmsg sendmsg(MSG_INTERRUPT)
.LBB5_190:
	s_or_b64 exec, exec, s[14:15]
	s_branch .LBB5_194
.LBB5_191:                              ;   in Loop: Header=BB5_194 Depth=1
	s_or_b64 exec, exec, s[14:15]
	v_readfirstlane_b32 s14, v1
	s_cmp_eq_u32 s14, 0
	s_cbranch_scc1 .LBB5_193
; %bb.192:                              ;   in Loop: Header=BB5_194 Depth=1
	s_sleep 1
	s_cbranch_execnz .LBB5_194
	s_branch .LBB5_196
.LBB5_193:
	s_branch .LBB5_196
.LBB5_194:                              ; =>This Inner Loop Header: Depth=1
	v_mov_b32_e32 v1, 1
	s_and_saveexec_b64 s[14:15], s[6:7]
	s_cbranch_execz .LBB5_191
; %bb.195:                              ;   in Loop: Header=BB5_194 Depth=1
	global_load_dword v1, v[9:10], off offset:20 glc
	s_waitcnt vmcnt(0)
	buffer_wbinvl1_vol
	v_and_b32_e32 v1, 1, v1
	s_branch .LBB5_191
.LBB5_196:
	s_and_b64 exec, exec, s[6:7]
	s_cbranch_execz .LBB5_199
; %bb.197:
	v_mov_b32_e32 v7, 0
	global_load_dwordx2 v[1:2], v7, s[10:11] offset:40
	global_load_dwordx2 v[10:11], v7, s[10:11] offset:24 glc
	global_load_dwordx2 v[3:4], v7, s[10:11]
	s_waitcnt vmcnt(2)
	v_readfirstlane_b32 s14, v1
	v_readfirstlane_b32 s15, v2
	s_add_u32 s16, s14, 1
	s_addc_u32 s17, s15, 0
	s_add_u32 s6, s16, s12
	s_addc_u32 s7, s17, s13
	s_cmp_eq_u64 s[6:7], 0
	s_cselect_b32 s7, s17, s7
	s_cselect_b32 s6, s16, s6
	s_and_b64 s[12:13], s[6:7], s[14:15]
	s_mul_i32 s13, s13, 24
	s_mul_hi_u32 s14, s12, 24
	s_mul_i32 s12, s12, 24
	s_add_i32 s13, s14, s13
	v_mov_b32_e32 v1, s13
	s_waitcnt vmcnt(0)
	v_add_co_u32_e32 v5, vcc, s12, v3
	v_addc_co_u32_e32 v6, vcc, v4, v1, vcc
	v_mov_b32_e32 v8, s6
	global_store_dwordx2 v[5:6], v[10:11], off
	v_mov_b32_e32 v9, s7
	s_waitcnt vmcnt(0)
	global_atomic_cmpswap_x2 v[3:4], v7, v[8:11], s[10:11] offset:24 glc
	s_mov_b64 s[12:13], 0
	s_waitcnt vmcnt(0)
	v_cmp_ne_u64_e32 vcc, v[3:4], v[10:11]
	s_and_b64 exec, exec, vcc
	s_cbranch_execz .LBB5_199
.LBB5_198:                              ; =>This Inner Loop Header: Depth=1
	s_sleep 1
	global_store_dwordx2 v[5:6], v[3:4], off
	v_mov_b32_e32 v1, s6
	v_mov_b32_e32 v2, s7
	s_waitcnt vmcnt(0)
	global_atomic_cmpswap_x2 v[1:2], v7, v[1:4], s[10:11] offset:24 glc
	s_waitcnt vmcnt(0)
	v_cmp_eq_u64_e32 vcc, v[1:2], v[3:4]
	v_mov_b32_e32 v4, v2
	s_or_b64 s[12:13], vcc, s[12:13]
	v_mov_b32_e32 v3, v1
	s_andn2_b64 exec, exec, s[12:13]
	s_cbranch_execnz .LBB5_198
.LBB5_199:
	s_or_b64 exec, exec, s[8:9]
	v_or_b32_e32 v0, v0, v44
	v_cmp_lt_i32_e32 vcc, -1, v0
	s_xor_b64 s[4:5], s[4:5], -1
	s_and_b64 s[4:5], vcc, s[4:5]
                                        ; implicit-def: $vgpr53
	s_and_saveexec_b64 s[6:7], s[4:5]
	s_xor_b64 s[4:5], exec, s[6:7]
	s_cbranch_execz .LBB5_201
; %bb.200:
	flat_load_dword v0, v[40:41]
	v_lshl_or_b32 v29, v33, 1, 1
	s_waitcnt vmcnt(0) lgkmcnt(0)
	v_ashrrev_i32_e32 v1, 31, v0
	v_add_u32_e32 v2, 1, v0
	flat_store_dword v[40:41], v2
	v_lshlrev_b64 v[1:2], 3, v[0:1]
	v_lshl_or_b32 v53, v0, 1, 1
	v_add_co_u32_e32 v1, vcc, v40, v1
	v_addc_co_u32_e32 v2, vcc, v41, v2, vcc
	flat_store_dwordx2 v[1:2], v[29:30] offset:8
.LBB5_201:
	s_or_saveexec_b64 s[40:41], s[4:5]
	s_mov_b64 s[4:5], s[26:27]
	s_xor_b64 exec, exec, s[40:41]
	s_cbranch_execz .LBB5_203
; %bb.202:
	s_getpc_b64 s[4:5]
	s_add_u32 s4, s4, .str.46@rel32@lo+4
	s_addc_u32 s5, s5, .str.46@rel32@hi+12
	s_getpc_b64 s[6:7]
	s_add_u32 s6, s6, .str.44@rel32@lo+4
	s_addc_u32 s7, s7, .str.44@rel32@hi+12
	s_getpc_b64 s[10:11]
	s_add_u32 s10, s10, __PRETTY_FUNCTION__._ZN8subgUtil18formAndNodeKeyFlagEiii@rel32@lo+4
	s_addc_u32 s11, s11, __PRETTY_FUNCTION__._ZN8subgUtil18formAndNodeKeyFlagEiii@rel32@hi+12
	s_getpc_b64 s[12:13]
	s_add_u32 s12, s12, __assert_fail@rel32@lo+4
	s_addc_u32 s13, s13, __assert_fail@rel32@hi+12
	s_mov_b64 s[8:9], s[34:35]
	v_mov_b32_e32 v0, s4
	v_mov_b32_e32 v1, s5
	;; [unrolled: 1-line block ×7, first 2 shown]
	s_swappc_b64 s[30:31], s[12:13]
	s_or_b64 s[4:5], s[26:27], exec
.LBB5_203:
	s_or_b64 exec, exec, s[40:41]
	s_andn2_b64 s[6:7], s[26:27], exec
	s_and_b64 s[4:5], s[4:5], exec
	s_or_b64 s[26:27], s[6:7], s[4:5]
	s_or_b64 exec, exec, s[28:29]
	s_and_saveexec_b64 s[4:5], s[26:27]
	s_cbranch_execnz .LBB5_4
	s_branch .LBB5_5
.Lfunc_end5:
	.size	_ZN3sop19sopFactorTrivialRecEPjiiPN8subgUtil4SubgILi256EEE, .Lfunc_end5-_ZN3sop19sopFactorTrivialRecEPjiiPN8subgUtil4SubgILi256EEE
                                        ; -- End function
	.set .L_ZN3sop19sopFactorTrivialRecEPjiiPN8subgUtil4SubgILi256EEE.num_vgpr, max(58, .L_ZN3sop23sopFactorTrivialCubeRecEjiiPN8subgUtil4SubgILi256EEE.num_vgpr, .L__assert_fail.num_vgpr)
	.set .L_ZN3sop19sopFactorTrivialRecEPjiiPN8subgUtil4SubgILi256EEE.num_agpr, max(0, .L_ZN3sop23sopFactorTrivialCubeRecEjiiPN8subgUtil4SubgILi256EEE.num_agpr, .L__assert_fail.num_agpr)
	.set .L_ZN3sop19sopFactorTrivialRecEPjiiPN8subgUtil4SubgILi256EEE.numbered_sgpr, max(56, .L_ZN3sop23sopFactorTrivialCubeRecEjiiPN8subgUtil4SubgILi256EEE.numbered_sgpr, .L__assert_fail.numbered_sgpr)
	.set .L_ZN3sop19sopFactorTrivialRecEPjiiPN8subgUtil4SubgILi256EEE.num_named_barrier, max(0, .L_ZN3sop23sopFactorTrivialCubeRecEjiiPN8subgUtil4SubgILi256EEE.num_named_barrier, .L__assert_fail.num_named_barrier)
	.set .L_ZN3sop19sopFactorTrivialRecEPjiiPN8subgUtil4SubgILi256EEE.private_seg_size, 48+max(.L_ZN3sop23sopFactorTrivialCubeRecEjiiPN8subgUtil4SubgILi256EEE.private_seg_size, .L__assert_fail.private_seg_size)
	.set .L_ZN3sop19sopFactorTrivialRecEPjiiPN8subgUtil4SubgILi256EEE.uses_vcc, or(1, .L_ZN3sop23sopFactorTrivialCubeRecEjiiPN8subgUtil4SubgILi256EEE.uses_vcc, .L__assert_fail.uses_vcc)
	.set .L_ZN3sop19sopFactorTrivialRecEPjiiPN8subgUtil4SubgILi256EEE.uses_flat_scratch, or(0, .L_ZN3sop23sopFactorTrivialCubeRecEjiiPN8subgUtil4SubgILi256EEE.uses_flat_scratch, .L__assert_fail.uses_flat_scratch)
	.set .L_ZN3sop19sopFactorTrivialRecEPjiiPN8subgUtil4SubgILi256EEE.has_dyn_sized_stack, or(0, .L_ZN3sop23sopFactorTrivialCubeRecEjiiPN8subgUtil4SubgILi256EEE.has_dyn_sized_stack, .L__assert_fail.has_dyn_sized_stack)
	.set .L_ZN3sop19sopFactorTrivialRecEPjiiPN8subgUtil4SubgILi256EEE.has_recursion, or(1, .L_ZN3sop23sopFactorTrivialCubeRecEjiiPN8subgUtil4SubgILi256EEE.has_recursion, .L__assert_fail.has_recursion)
	.set .L_ZN3sop19sopFactorTrivialRecEPjiiPN8subgUtil4SubgILi256EEE.has_indirect_call, or(0, .L_ZN3sop23sopFactorTrivialCubeRecEjiiPN8subgUtil4SubgILi256EEE.has_indirect_call, .L__assert_fail.has_indirect_call)
	.section	.AMDGPU.csdata,"",@progbits
; Function info:
; codeLenInByte = 8120
; TotalNumSgprs: 60
; NumVgprs: 58
; ScratchSize: 144
; MemoryBound: 0
	.text
	.p2align	2                               ; -- Begin function _ZN3sop12sopFactorRecEPNS_3SopEiP7VecsMemIjLi8192EEPN8subgUtil4SubgILi256EEE
	.type	_ZN3sop12sopFactorRecEPNS_3SopEiP7VecsMemIjLi8192EEPN8subgUtil4SubgILi256EEE,@function
_ZN3sop12sopFactorRecEPNS_3SopEiP7VecsMemIjLi8192EEPN8subgUtil4SubgILi256EEE: ; @_ZN3sop12sopFactorRecEPNS_3SopEiP7VecsMemIjLi8192EEPN8subgUtil4SubgILi256EEE
; %bb.0:
	s_waitcnt vmcnt(0) expcnt(0) lgkmcnt(0)
	s_mov_b32 s4, s33
	s_mov_b32 s33, s32
	s_or_saveexec_b64 s[6:7], -1
	buffer_store_dword v63, off, s[0:3], s33 offset:184 ; 4-byte Folded Spill
	buffer_store_dword v62, off, s[0:3], s33 offset:188 ; 4-byte Folded Spill
	s_mov_b64 exec, s[6:7]
	v_writelane_b32 v63, s4, 34
	s_addk_i32 s32, 0x3400
	buffer_store_dword v40, off, s[0:3], s33 offset:52 ; 4-byte Folded Spill
	buffer_store_dword v41, off, s[0:3], s33 offset:48 ; 4-byte Folded Spill
	;; [unrolled: 1-line block ×13, first 2 shown]
	buffer_store_dword v61, off, s[0:3], s33 ; 4-byte Folded Spill
	v_writelane_b32 v63, s34, 0
	v_writelane_b32 v63, s35, 1
	;; [unrolled: 1-line block ×34, first 2 shown]
	v_mov_b32_e32 v54, v1
	v_mov_b32_e32 v53, v0
	flat_load_dword v0, v[53:54] offset:4
	v_mov_b32_e32 v43, v6
	v_mov_b32_e32 v42, v5
	;; [unrolled: 1-line block ×5, first 2 shown]
	s_mov_b64 s[64:65], s[8:9]
	s_mov_b64 s[66:67], 0
	s_waitcnt vmcnt(0) lgkmcnt(0)
	v_cmp_gt_i32_e32 vcc, 1, v0
	s_and_saveexec_b64 s[4:5], vcc
	s_xor_b64 s[26:27], exec, s[4:5]
	s_cbranch_execnz .LBB6_5
; %bb.1:
	s_or_saveexec_b64 s[68:69], s[26:27]
                                        ; implicit-def: $vgpr41
	s_xor_b64 exec, exec, s[68:69]
	s_cbranch_execnz .LBB6_6
.LBB6_2:
	s_or_b64 exec, exec, s[68:69]
	s_and_saveexec_b64 s[4:5], s[66:67]
.LBB6_3:
	; divergent unreachable
.LBB6_4:
	s_or_b64 exec, exec, s[4:5]
	v_mov_b32_e32 v0, v41
	buffer_load_dword v61, off, s[0:3], s33 ; 4-byte Folded Reload
	buffer_load_dword v60, off, s[0:3], s33 offset:4 ; 4-byte Folded Reload
	buffer_load_dword v59, off, s[0:3], s33 offset:8 ; 4-byte Folded Reload
	;; [unrolled: 1-line block ×4, first 2 shown]
	s_waitcnt lgkmcnt(0)
	buffer_load_dword v56, off, s[0:3], s33 offset:20 ; 4-byte Folded Reload
	buffer_load_dword v47, off, s[0:3], s33 offset:24 ; 4-byte Folded Reload
	;; [unrolled: 1-line block ×9, first 2 shown]
	v_readlane_b32 s30, v63, 32
	v_readlane_b32 s31, v63, 33
	v_readlane_b32 s97, v63, 31
	v_readlane_b32 s96, v63, 30
	v_readlane_b32 s87, v63, 29
	v_readlane_b32 s86, v63, 28
	v_readlane_b32 s85, v63, 27
	v_readlane_b32 s84, v63, 26
	v_readlane_b32 s83, v63, 25
	v_readlane_b32 s82, v63, 24
	v_readlane_b32 s81, v63, 23
	v_readlane_b32 s80, v63, 22
	v_readlane_b32 s71, v63, 21
	v_readlane_b32 s70, v63, 20
	v_readlane_b32 s69, v63, 19
	v_readlane_b32 s68, v63, 18
	v_readlane_b32 s67, v63, 17
	v_readlane_b32 s66, v63, 16
	v_readlane_b32 s65, v63, 15
	v_readlane_b32 s64, v63, 14
	v_readlane_b32 s55, v63, 13
	v_readlane_b32 s54, v63, 12
	v_readlane_b32 s53, v63, 11
	v_readlane_b32 s52, v63, 10
	v_readlane_b32 s51, v63, 9
	v_readlane_b32 s50, v63, 8
	v_readlane_b32 s49, v63, 7
	v_readlane_b32 s48, v63, 6
	v_readlane_b32 s39, v63, 5
	v_readlane_b32 s38, v63, 4
	v_readlane_b32 s37, v63, 3
	v_readlane_b32 s36, v63, 2
	v_readlane_b32 s35, v63, 1
	v_readlane_b32 s34, v63, 0
	s_mov_b32 s32, s33
	v_readlane_b32 s4, v63, 34
	s_or_saveexec_b64 s[6:7], -1
	buffer_load_dword v63, off, s[0:3], s33 offset:184 ; 4-byte Folded Reload
	buffer_load_dword v62, off, s[0:3], s33 offset:188 ; 4-byte Folded Reload
	s_mov_b64 exec, s[6:7]
	s_mov_b32 s33, s4
	s_waitcnt vmcnt(0)
	s_setpc_b64 s[30:31]
.LBB6_5:
	s_getpc_b64 s[4:5]
	s_add_u32 s4, s4, .str.33@rel32@lo+4
	s_addc_u32 s5, s5, .str.33@rel32@hi+12
	s_getpc_b64 s[6:7]
	s_add_u32 s6, s6, .str.31@rel32@lo+4
	s_addc_u32 s7, s7, .str.31@rel32@hi+12
	s_getpc_b64 s[10:11]
	s_add_u32 s10, s10, __PRETTY_FUNCTION__._ZN3sop12sopFactorRecEPNS_3SopEiP7VecsMemIjLi8192EEPN8subgUtil4SubgILi256EEE@rel32@lo+4
	s_addc_u32 s11, s11, __PRETTY_FUNCTION__._ZN3sop12sopFactorRecEPNS_3SopEiP7VecsMemIjLi8192EEPN8subgUtil4SubgILi256EEE@rel32@hi+12
	s_getpc_b64 s[12:13]
	s_add_u32 s12, s12, __assert_fail@rel32@lo+4
	s_addc_u32 s13, s13, __assert_fail@rel32@hi+12
	s_mov_b64 s[8:9], s[64:65]
	v_mov_b32_e32 v0, s4
	v_mov_b32_e32 v1, s5
	;; [unrolled: 1-line block ×7, first 2 shown]
	s_swappc_b64 s[30:31], s[12:13]
	s_mov_b64 s[66:67], exec
                                        ; implicit-def: $vgpr44
                                        ; implicit-def: $vgpr0
                                        ; implicit-def: $vgpr47
                                        ; implicit-def: $vgpr53_vgpr54
                                        ; implicit-def: $vgpr42
	s_or_saveexec_b64 s[68:69], s[26:27]
                                        ; implicit-def: $vgpr41
	s_xor_b64 exec, exec, s[68:69]
	s_cbranch_execz .LBB6_2
.LBB6_6:
	v_cmp_ne_u32_e32 vcc, 1, v0
	v_cmp_lt_i32_e64 s[74:75], 0, v47
	s_mov_b32 s14, 0
	s_and_b64 s[8:9], s[74:75], vcc
	s_mov_b64 s[80:81], 0
	s_mov_b64 s[6:7], -1
	s_mov_b64 s[70:71], s[66:67]
	s_mov_b64 s[4:5], -1
                                        ; implicit-def: $vgpr46
                                        ; implicit-def: $vgpr60_vgpr61
	s_and_saveexec_b64 s[26:27], s[8:9]
	s_cbranch_execz .LBB6_45
; %bb.7:
	flat_load_dwordx2 v[3:4], v[53:54] offset:8
	s_mov_b64 s[6:7], 0
                                        ; implicit-def: $sgpr4_sgpr5
                                        ; implicit-def: $sgpr8_sgpr9
	s_branch .LBB6_9
.LBB6_8:                                ;   in Loop: Header=BB6_9 Depth=1
	s_or_b64 exec, exec, s[12:13]
	s_and_b64 s[10:11], exec, s[10:11]
	s_or_b64 s[6:7], s[10:11], s[6:7]
	s_andn2_b64 s[4:5], s[4:5], exec
	s_and_b64 s[10:11], s[8:9], exec
	s_or_b64 s[4:5], s[4:5], s[10:11]
	s_andn2_b64 exec, exec, s[6:7]
	s_cbranch_execz .LBB6_13
.LBB6_9:                                ; =>This Loop Header: Depth=1
                                        ;     Child Loop BB6_10 Depth 2
	s_waitcnt vmcnt(0) lgkmcnt(0)
	v_mov_b32_e32 v1, v3
	v_mov_b32_e32 v5, 0
	s_mov_b64 s[10:11], 0
	v_mov_b32_e32 v2, v4
	v_mov_b32_e32 v6, v0
.LBB6_10:                               ;   Parent Loop BB6_9 Depth=1
                                        ; =>  This Inner Loop Header: Depth=2
	flat_load_dword v7, v[1:2]
	v_add_co_u32_e32 v1, vcc, 4, v1
	v_add_u32_e32 v6, -1, v6
	v_addc_co_u32_e32 v2, vcc, 0, v2, vcc
	v_cmp_eq_u32_e32 vcc, 0, v6
	s_or_b64 s[10:11], vcc, s[10:11]
	s_waitcnt vmcnt(0) lgkmcnt(0)
	v_bfe_u32 v7, v7, s14, 1
	v_add_u32_e32 v5, v7, v5
	s_andn2_b64 exec, exec, s[10:11]
	s_cbranch_execnz .LBB6_10
; %bb.11:                               ;   in Loop: Header=BB6_9 Depth=1
	s_or_b64 exec, exec, s[10:11]
	v_cmp_gt_u32_e32 vcc, 2, v5
	s_mov_b64 s[10:11], -1
	s_or_b64 s[8:9], s[8:9], exec
	s_and_saveexec_b64 s[12:13], vcc
	s_cbranch_execz .LBB6_8
; %bb.12:                               ;   in Loop: Header=BB6_9 Depth=1
	s_add_i32 s14, s14, 1
	v_cmp_eq_u32_e32 vcc, s14, v47
	s_andn2_b64 s[8:9], s[8:9], exec
	s_orn2_b64 s[10:11], vcc, exec
	s_branch .LBB6_8
.LBB6_13:
	s_or_b64 exec, exec, s[6:7]
	s_mov_b64 s[6:7], 0
	s_mov_b64 s[8:9], -1
	s_mov_b64 s[10:11], s[66:67]
	s_mov_b64 s[12:13], -1
                                        ; implicit-def: $vgpr46
                                        ; implicit-def: $vgpr60_vgpr61
	s_and_saveexec_b64 s[14:15], s[4:5]
	s_xor_b64 s[28:29], exec, s[14:15]
	s_cbranch_execz .LBB6_44
; %bb.14:
	flat_load_dword v2, v[44:45]
	s_movk_i32 s8, 0x2001
	v_mov_b32_e32 v1, 0
	s_mov_b64 s[4:5], 0
	s_mov_b64 s[6:7], -1
	buffer_store_dword v1, off, s[0:3], s33 offset:124
                                        ; implicit-def: $vgpr46
                                        ; implicit-def: $vgpr60_vgpr61
	s_waitcnt vmcnt(0) lgkmcnt(0)
	v_add_u32_e32 v5, v2, v0
	v_cmp_gt_i32_e32 vcc, s8, v5
	s_mov_b64 s[8:9], s[66:67]
	s_and_saveexec_b64 s[40:41], vcc
	s_cbranch_execz .LBB6_43
; %bb.15:
	v_ashrrev_i32_e32 v6, 31, v5
	flat_store_dword v[44:45], v5
	v_lshlrev_b64 v[5:6], 2, v[5:6]
	v_lshlrev_b64 v[0:1], 2, v[0:1]
	v_add_co_u32_e32 v2, vcc, v44, v5
	v_addc_co_u32_e32 v8, vcc, v45, v6, vcc
	v_sub_co_u32_e32 v7, vcc, v2, v0
	v_subb_co_u32_e32 v8, vcc, v8, v1, vcc
	v_add_co_u32_e32 v60, vcc, 4, v7
	v_addc_co_u32_e32 v61, vcc, 0, v8, vcc
	v_sub_co_u32_e32 v0, vcc, v5, v0
	v_subb_co_u32_e32 v1, vcc, v6, v1, vcc
	v_add_co_u32_e32 v0, vcc, v44, v0
	v_addc_co_u32_e32 v1, vcc, v45, v1, vcc
	v_add_co_u32_e32 v0, vcc, 4, v0
	v_addc_co_u32_e32 v1, vcc, 0, v1, vcc
	v_mov_b32_e32 v6, v1
	buffer_store_dword v61, off, s[0:3], s33 offset:132
	buffer_store_dword v60, off, s[0:3], s33 offset:128
	s_mov_b32 s8, 0
	s_mov_b64 s[6:7], 0
	v_mov_b32_e32 v5, v0
.LBB6_16:                               ; =>This Inner Loop Header: Depth=1
	flat_load_dword v2, v[3:4]
	v_add_co_u32_e32 v3, vcc, 4, v3
	s_add_i32 s8, s8, 1
	v_addc_co_u32_e32 v4, vcc, 0, v4, vcc
	s_waitcnt vmcnt(0) lgkmcnt(0)
	flat_store_dword v[5:6], v2
	flat_load_dword v9, v[53:54] offset:4
	v_add_co_u32_e32 v5, vcc, 4, v5
	v_mov_b32_e32 v2, s8
	v_addc_co_u32_e32 v6, vcc, 0, v6, vcc
	s_waitcnt vmcnt(0) lgkmcnt(0)
	v_cmp_ge_i32_e64 s[4:5], s8, v9
	s_or_b64 s[6:7], s[4:5], s[6:7]
	s_andn2_b64 exec, exec, s[6:7]
	s_cbranch_execnz .LBB6_16
; %bb.17:
	s_or_b64 exec, exec, s[6:7]
	s_mov_b64 s[12:13], 0
	s_mov_b32 s18, 0xf4240
                                        ; implicit-def: $sgpr10_sgpr11
	s_branch .LBB6_20
.LBB6_18:                               ;   in Loop: Header=BB6_20 Depth=1
	s_or_b64 exec, exec, s[6:7]
	s_xor_b64 s[6:7], exec, -1
.LBB6_19:                               ;   in Loop: Header=BB6_20 Depth=1
	s_or_b64 exec, exec, s[8:9]
	s_and_b64 s[4:5], exec, s[6:7]
	s_or_b64 s[12:13], s[4:5], s[12:13]
	s_andn2_b64 s[4:5], s[10:11], exec
	s_and_b64 s[6:7], vcc, exec
	s_or_b64 s[10:11], s[4:5], s[6:7]
	s_andn2_b64 exec, exec, s[12:13]
	s_cbranch_execz .LBB6_40
.LBB6_20:                               ; =>This Loop Header: Depth=1
                                        ;     Child Loop BB6_22 Depth 2
                                        ;       Child Loop BB6_24 Depth 3
                                        ;     Child Loop BB6_30 Depth 2
                                        ;     Child Loop BB6_35 Depth 2
	;; [unrolled: 1-line block ×3, first 2 shown]
	v_mov_b32_e32 v46, v2
	v_cmp_lt_i32_e64 s[4:5], 0, v46
	v_cmp_gt_i32_e32 vcc, 1, v46
	v_mov_b32_e32 v4, -1
	v_mov_b32_e32 v5, 0xf4240
	s_mov_b64 s[14:15], 0
	s_mov_b32 s19, 0
	s_branch .LBB6_22
.LBB6_21:                               ;   in Loop: Header=BB6_22 Depth=2
	s_or_b64 exec, exec, s[8:9]
	v_cmp_lt_u32_e64 s[6:7], 1, v6
	v_cmp_gt_i32_e64 s[8:9], v5, v6
	v_mov_b32_e32 v2, s19
	s_add_i32 s19, s19, 1
	s_and_b64 s[6:7], s[6:7], s[8:9]
	v_cmp_eq_u32_e64 s[8:9], s19, v47
	v_cndmask_b32_e64 v4, v4, v2, s[6:7]
	s_or_b64 s[14:15], s[8:9], s[14:15]
	v_cndmask_b32_e64 v5, v5, v6, s[6:7]
	s_andn2_b64 exec, exec, s[14:15]
	s_cbranch_execz .LBB6_26
.LBB6_22:                               ;   Parent Loop BB6_20 Depth=1
                                        ; =>  This Loop Header: Depth=2
                                        ;       Child Loop BB6_24 Depth 3
	v_mov_b32_e32 v6, 0
	s_and_saveexec_b64 s[8:9], s[4:5]
	s_cbranch_execz .LBB6_21
; %bb.23:                               ;   in Loop: Header=BB6_22 Depth=2
	v_mov_b32_e32 v3, v1
	v_mov_b32_e32 v6, 0
	s_mov_b64 s[16:17], 0
	v_mov_b32_e32 v2, v0
	v_mov_b32_e32 v9, v46
.LBB6_24:                               ;   Parent Loop BB6_20 Depth=1
                                        ;     Parent Loop BB6_22 Depth=2
                                        ; =>    This Inner Loop Header: Depth=3
	flat_load_dword v10, v[2:3]
	v_add_co_u32_e64 v2, s[6:7], 4, v2
	v_add_u32_e32 v9, -1, v9
	v_addc_co_u32_e64 v3, s[6:7], 0, v3, s[6:7]
	v_cmp_eq_u32_e64 s[6:7], 0, v9
	s_or_b64 s[16:17], s[6:7], s[16:17]
	s_waitcnt vmcnt(0) lgkmcnt(0)
	v_bfe_u32 v10, v10, s19, 1
	v_add_u32_e32 v6, v10, v6
	s_andn2_b64 exec, exec, s[16:17]
	s_cbranch_execnz .LBB6_24
; %bb.25:                               ;   in Loop: Header=BB6_22 Depth=2
	s_or_b64 exec, exec, s[16:17]
	s_branch .LBB6_21
.LBB6_26:                               ;   in Loop: Header=BB6_20 Depth=1
	s_or_b64 exec, exec, s[14:15]
	v_cmp_gt_i32_e64 s[6:7], s18, v5
	v_cmp_ne_u32_e64 s[8:9], -1, v4
	s_and_b64 s[14:15], s[6:7], s[8:9]
	s_mov_b64 s[6:7], -1
                                        ; implicit-def: $vgpr2
	s_and_saveexec_b64 s[8:9], s[14:15]
	s_cbranch_execz .LBB6_19
; %bb.27:                               ;   in Loop: Header=BB6_20 Depth=1
	v_mov_b32_e32 v2, 0
	s_and_saveexec_b64 s[6:7], s[4:5]
	s_cbranch_execz .LBB6_33
; %bb.28:                               ;   in Loop: Header=BB6_20 Depth=1
	v_lshlrev_b32_e64 v6, v4, 1
	v_mov_b32_e32 v5, v1
	v_not_b32_e32 v9, v6
	v_mov_b32_e32 v2, 0
	s_mov_b64 s[14:15], 0
	s_mov_b32 s19, 0
	v_mov_b32_e32 v4, v0
	s_branch .LBB6_30
.LBB6_29:                               ;   in Loop: Header=BB6_30 Depth=2
	s_or_b64 exec, exec, s[16:17]
	s_add_i32 s19, s19, 1
	v_cmp_ge_i32_e64 s[4:5], s19, v46
	s_or_b64 s[14:15], s[4:5], s[14:15]
	v_add_co_u32_e64 v4, s[4:5], 4, v4
	v_addc_co_u32_e64 v5, s[4:5], 0, v5, s[4:5]
	s_andn2_b64 exec, exec, s[14:15]
	s_cbranch_execz .LBB6_32
.LBB6_30:                               ;   Parent Loop BB6_20 Depth=1
                                        ; =>  This Inner Loop Header: Depth=2
	flat_load_dword v3, v[4:5]
	s_waitcnt vmcnt(0) lgkmcnt(0)
	v_and_b32_e32 v10, v3, v6
	v_cmp_ne_u32_e64 s[4:5], 0, v10
	s_and_saveexec_b64 s[16:17], s[4:5]
	s_cbranch_execz .LBB6_29
; %bb.31:                               ;   in Loop: Header=BB6_30 Depth=2
	v_and_b32_e32 v10, v3, v9
	v_ashrrev_i32_e32 v3, 31, v2
	v_add_u32_e32 v11, 1, v2
	v_lshlrev_b64 v[2:3], 2, v[2:3]
	v_add_co_u32_e64 v2, s[4:5], v7, v2
	v_addc_co_u32_e64 v3, s[4:5], v8, v3, s[4:5]
	flat_store_dword v[2:3], v10 offset:4
	v_mov_b32_e32 v2, v11
	s_branch .LBB6_29
.LBB6_32:                               ;   in Loop: Header=BB6_20 Depth=1
	s_or_b64 exec, exec, s[14:15]
.LBB6_33:                               ;   in Loop: Header=BB6_20 Depth=1
	s_or_b64 exec, exec, s[6:7]
	v_cmp_gt_i32_e64 s[4:5], 1, v2
	v_cmp_lt_i32_e64 s[6:7], 0, v2
	v_mov_b32_e32 v5, -1
	s_and_saveexec_b64 s[14:15], s[6:7]
	s_cbranch_execz .LBB6_37
; %bb.34:                               ;   in Loop: Header=BB6_20 Depth=1
	v_mov_b32_e32 v4, v1
	v_mov_b32_e32 v5, -1
	s_mov_b64 s[16:17], 0
	v_mov_b32_e32 v3, v0
	v_mov_b32_e32 v6, v2
.LBB6_35:                               ;   Parent Loop BB6_20 Depth=1
                                        ; =>  This Inner Loop Header: Depth=2
	flat_load_dword v9, v[3:4]
	v_add_co_u32_e64 v3, s[6:7], 4, v3
	v_add_u32_e32 v6, -1, v6
	v_addc_co_u32_e64 v4, s[6:7], 0, v4, s[6:7]
	v_cmp_eq_u32_e64 s[6:7], 0, v6
	s_or_b64 s[16:17], s[6:7], s[16:17]
	s_waitcnt vmcnt(0) lgkmcnt(0)
	v_and_b32_e32 v5, v9, v5
	s_andn2_b64 exec, exec, s[16:17]
	s_cbranch_execnz .LBB6_35
; %bb.36:                               ;   in Loop: Header=BB6_20 Depth=1
	s_or_b64 exec, exec, s[16:17]
.LBB6_37:                               ;   in Loop: Header=BB6_20 Depth=1
	s_or_b64 exec, exec, s[14:15]
	v_cmp_ne_u32_e64 s[6:7], 0, v5
	s_xor_b64 s[4:5], s[4:5], -1
	s_and_b64 s[4:5], s[4:5], s[6:7]
	s_and_saveexec_b64 s[6:7], s[4:5]
	s_cbranch_execz .LBB6_18
; %bb.38:                               ;   in Loop: Header=BB6_20 Depth=1
	v_mov_b32_e32 v4, v1
	v_not_b32_e32 v5, v5
	s_mov_b64 s[14:15], 0
	v_mov_b32_e32 v3, v0
	v_mov_b32_e32 v6, v2
.LBB6_39:                               ;   Parent Loop BB6_20 Depth=1
                                        ; =>  This Inner Loop Header: Depth=2
	flat_load_dword v9, v[3:4]
	v_add_u32_e32 v6, -1, v6
	v_cmp_eq_u32_e64 s[4:5], 0, v6
	s_or_b64 s[14:15], s[4:5], s[14:15]
	s_waitcnt vmcnt(0) lgkmcnt(0)
	v_and_b32_e32 v9, v9, v5
	flat_store_dword v[3:4], v9
	v_add_co_u32_e64 v3, s[4:5], 4, v3
	v_addc_co_u32_e64 v4, s[4:5], 0, v4, s[4:5]
	s_andn2_b64 exec, exec, s[14:15]
	s_cbranch_execnz .LBB6_39
	s_branch .LBB6_18
.LBB6_40:
	s_or_b64 exec, exec, s[12:13]
	s_mov_b64 s[4:5], -1
	s_mov_b64 s[6:7], s[66:67]
	buffer_store_dword v46, off, s[0:3], s33 offset:124
	s_and_saveexec_b64 s[42:43], s[10:11]
	s_cbranch_execz .LBB6_42
; %bb.41:
	s_getpc_b64 s[4:5]
	s_add_u32 s4, s4, .str.35@rel32@lo+4
	s_addc_u32 s5, s5, .str.35@rel32@hi+12
	s_getpc_b64 s[6:7]
	s_add_u32 s6, s6, .str.31@rel32@lo+4
	s_addc_u32 s7, s7, .str.31@rel32@hi+12
	s_getpc_b64 s[10:11]
	s_add_u32 s10, s10, __PRETTY_FUNCTION__._ZN3sop10sopDivisorEPNS_3SopES1_iP7VecsMemIjLi8192EE@rel32@lo+4
	s_addc_u32 s11, s11, __PRETTY_FUNCTION__._ZN3sop10sopDivisorEPNS_3SopES1_iP7VecsMemIjLi8192EE@rel32@hi+12
	s_getpc_b64 s[12:13]
	s_add_u32 s12, s12, __assert_fail@rel32@lo+4
	s_addc_u32 s13, s13, __assert_fail@rel32@hi+12
	s_mov_b64 s[8:9], s[64:65]
	v_mov_b32_e32 v0, s4
	v_mov_b32_e32 v1, s5
	;; [unrolled: 1-line block ×7, first 2 shown]
	s_swappc_b64 s[30:31], s[12:13]
	s_or_b64 s[6:7], s[66:67], exec
	s_xor_b64 s[4:5], exec, -1
.LBB6_42:
	s_or_b64 exec, exec, s[42:43]
	s_andn2_b64 s[8:9], s[66:67], exec
	s_and_b64 s[6:7], s[6:7], exec
	s_or_b64 s[8:9], s[8:9], s[6:7]
	s_xor_b64 s[6:7], exec, -1
	s_and_b64 s[4:5], s[4:5], exec
.LBB6_43:
	s_or_b64 exec, exec, s[40:41]
	s_andn2_b64 s[10:11], s[66:67], exec
	s_and_b64 s[8:9], s[8:9], exec
	s_orn2_b64 s[12:13], s[6:7], exec
	s_or_b64 s[10:11], s[10:11], s[8:9]
	s_and_b64 s[6:7], s[6:7], exec
	s_orn2_b64 s[8:9], s[4:5], exec
.LBB6_44:
	s_or_b64 exec, exec, s[28:29]
	s_orn2_b64 s[4:5], s[12:13], exec
	s_andn2_b64 s[12:13], s[66:67], exec
	s_and_b64 s[10:11], s[10:11], exec
	s_or_b64 s[70:71], s[12:13], s[10:11]
	s_and_b64 s[80:81], s[6:7], exec
	s_orn2_b64 s[6:7], s[8:9], exec
.LBB6_45:
	s_or_b64 exec, exec, s[26:27]
                                        ; implicit-def: $vgpr41
	s_and_saveexec_b64 s[82:83], s[6:7]
	s_cbranch_execz .LBB6_2850
; %bb.46:
	s_xor_b64 s[4:5], s[4:5], -1
	s_mov_b64 s[84:85], s[70:71]
                                        ; implicit-def: $vgpr41
	s_and_saveexec_b64 s[6:7], s[4:5]
	s_xor_b64 s[42:43], exec, s[6:7]
	s_cbranch_execz .LBB6_2847
; %bb.47:
	flat_load_dword v56, v[53:54] offset:4
	s_mov_b64 s[26:27], s[70:71]
                                        ; implicit-def: $vgpr41
	s_waitcnt vmcnt(0) lgkmcnt(0)
	v_cmp_ge_i32_e32 vcc, v56, v46
	s_and_saveexec_b64 s[4:5], vcc
	s_xor_b64 s[44:45], exec, s[4:5]
	s_cbranch_execz .LBB6_2844
; %bb.48:
	v_cmp_ne_u32_e32 vcc, 1, v46
	s_mov_b64 s[46:47], 0
	s_mov_b64 s[4:5], 0
	;; [unrolled: 1-line block ×3, first 2 shown]
                                        ; implicit-def: $vgpr55
                                        ; implicit-def: $vgpr19_vgpr20
                                        ; implicit-def: $vgpr58_vgpr59
	s_and_saveexec_b64 s[6:7], vcc
	s_xor_b64 s[26:27], exec, s[6:7]
	s_cbranch_execnz .LBB6_51
; %bb.49:
	s_or_saveexec_b64 s[6:7], s[26:27]
	s_mov_b64 s[60:61], 0
	s_xor_b64 exec, exec, s[6:7]
	s_cbranch_execnz .LBB6_409
.LBB6_50:
	s_or_b64 exec, exec, s[6:7]
                                        ; implicit-def: $vgpr41
	s_and_saveexec_b64 s[62:63], s[4:5]
	s_cbranch_execnz .LBB6_420
	s_branch .LBB6_2561
.LBB6_51:
	v_cvt_f32_u32_e32 v0, v46
	v_sub_u32_e32 v1, 0, v46
	v_mov_b32_e32 v19, 0
	s_mov_b64 s[4:5], -1
	v_rcp_iflag_f32_e32 v0, v0
	v_mov_b32_e32 v20, 0
	s_mov_b64 s[28:29], s[70:71]
	v_mul_f32_e32 v0, 0x4f7ffffe, v0
	v_cvt_u32_f32_e32 v0, v0
	v_mul_lo_u32 v1, v1, v0
	v_mul_hi_u32 v1, v0, v1
	v_add_u32_e32 v0, v0, v1
	v_mul_hi_u32 v0, v56, v0
	v_mov_b32_e32 v1, 0
	buffer_store_dword v1, off, s[0:3], s33 offset:140
	v_mul_lo_u32 v2, v0, v46
	v_add_u32_e32 v1, 1, v0
	v_sub_u32_e32 v2, v56, v2
	v_cmp_ge_u32_e32 vcc, v2, v46
	v_cndmask_b32_e32 v0, v0, v1, vcc
	v_sub_u32_e32 v1, v2, v46
	v_cndmask_b32_e32 v1, v2, v1, vcc
	v_add_u32_e32 v2, 1, v0
	v_cmp_ge_u32_e32 vcc, v1, v46
	v_cndmask_b32_e32 v0, v0, v2, vcc
	v_cmp_lt_i32_e32 vcc, 0, v0
	s_and_saveexec_b64 s[40:41], vcc
	s_cbranch_execz .LBB6_196
; %bb.52:
	flat_load_dword v1, v[44:45]
	s_movk_i32 s4, 0x2001
	v_mov_b32_e32 v19, 0
	v_mov_b32_e32 v20, 0
	s_mov_b64 s[56:57], 0
	s_waitcnt vmcnt(0) lgkmcnt(0)
	v_add_u32_e32 v1, v1, v0
	v_cmp_gt_i32_e32 vcc, s4, v1
	s_and_saveexec_b64 s[4:5], vcc
	s_xor_b64 s[4:5], exec, s[4:5]
	s_cbranch_execz .LBB6_54
; %bb.53:
	v_ashrrev_i32_e32 v2, 31, v1
	flat_store_dword v[44:45], v1
	v_lshlrev_b64 v[1:2], 2, v[1:2]
	s_mov_b64 s[56:57], exec
	v_add_co_u32_e32 v3, vcc, v44, v1
	v_mov_b32_e32 v1, 0
	v_lshlrev_b64 v[0:1], 2, v[0:1]
	v_addc_co_u32_e32 v2, vcc, v45, v2, vcc
	v_sub_co_u32_e32 v0, vcc, v3, v0
	v_subb_co_u32_e32 v1, vcc, v2, v1, vcc
	v_add_co_u32_e32 v19, vcc, 4, v0
	v_addc_co_u32_e32 v20, vcc, 0, v1, vcc
.LBB6_54:
	s_or_saveexec_b64 s[28:29], s[4:5]
	s_mov_b64 s[4:5], s[70:71]
	s_xor_b64 exec, exec, s[28:29]
	s_cbranch_execz .LBB6_195
; %bb.55:
	s_load_dwordx2 s[6:7], s[64:65], 0x50
	v_mbcnt_lo_u32_b32 v0, -1, 0
	v_mbcnt_hi_u32_b32 v30, -1, v0
	v_readfirstlane_b32 s4, v30
	v_mov_b32_e32 v5, 0
	v_mov_b32_e32 v6, 0
	v_cmp_eq_u32_e64 s[4:5], s4, v30
	s_and_saveexec_b64 s[8:9], s[4:5]
	s_cbranch_execz .LBB6_61
; %bb.56:
	v_mov_b32_e32 v0, 0
	s_waitcnt lgkmcnt(0)
	global_load_dwordx2 v[3:4], v0, s[6:7] offset:24 glc
	s_waitcnt vmcnt(0)
	buffer_wbinvl1_vol
	global_load_dwordx2 v[1:2], v0, s[6:7] offset:40
	global_load_dwordx2 v[5:6], v0, s[6:7]
	s_waitcnt vmcnt(1)
	v_and_b32_e32 v1, v1, v3
	v_and_b32_e32 v2, v2, v4
	v_mul_lo_u32 v2, v2, 24
	v_mul_hi_u32 v7, v1, 24
	v_mul_lo_u32 v1, v1, 24
	v_add_u32_e32 v2, v7, v2
	s_waitcnt vmcnt(0)
	v_add_co_u32_e32 v1, vcc, v5, v1
	v_addc_co_u32_e32 v2, vcc, v6, v2, vcc
	global_load_dwordx2 v[1:2], v[1:2], off glc
	s_waitcnt vmcnt(0)
	global_atomic_cmpswap_x2 v[5:6], v0, v[1:4], s[6:7] offset:24 glc
	s_waitcnt vmcnt(0)
	buffer_wbinvl1_vol
	v_cmp_ne_u64_e32 vcc, v[5:6], v[3:4]
	s_and_saveexec_b64 s[10:11], vcc
	s_cbranch_execz .LBB6_60
; %bb.57:
	s_mov_b64 s[12:13], 0
.LBB6_58:                               ; =>This Inner Loop Header: Depth=1
	s_sleep 1
	global_load_dwordx2 v[1:2], v0, s[6:7] offset:40
	global_load_dwordx2 v[7:8], v0, s[6:7]
	v_mov_b32_e32 v3, v5
	v_mov_b32_e32 v4, v6
	s_waitcnt vmcnt(1)
	v_and_b32_e32 v1, v1, v3
	s_waitcnt vmcnt(0)
	v_mad_u64_u32 v[5:6], s[14:15], v1, 24, v[7:8]
	v_and_b32_e32 v2, v2, v4
	v_mov_b32_e32 v1, v6
	v_mad_u64_u32 v[1:2], s[14:15], v2, 24, v[1:2]
	v_mov_b32_e32 v6, v1
	global_load_dwordx2 v[1:2], v[5:6], off glc
	s_waitcnt vmcnt(0)
	global_atomic_cmpswap_x2 v[5:6], v0, v[1:4], s[6:7] offset:24 glc
	s_waitcnt vmcnt(0)
	buffer_wbinvl1_vol
	v_cmp_eq_u64_e32 vcc, v[5:6], v[3:4]
	s_or_b64 s[12:13], vcc, s[12:13]
	s_andn2_b64 exec, exec, s[12:13]
	s_cbranch_execnz .LBB6_58
; %bb.59:
	s_or_b64 exec, exec, s[12:13]
.LBB6_60:
	s_or_b64 exec, exec, s[10:11]
.LBB6_61:
	s_or_b64 exec, exec, s[8:9]
	v_mov_b32_e32 v4, 0
	s_waitcnt lgkmcnt(0)
	global_load_dwordx2 v[7:8], v4, s[6:7] offset:40
	global_load_dwordx4 v[0:3], v4, s[6:7]
	v_readfirstlane_b32 s9, v6
	v_readfirstlane_b32 s8, v5
	s_mov_b64 s[10:11], exec
	s_waitcnt vmcnt(0)
	v_readfirstlane_b32 s12, v7
	v_readfirstlane_b32 s13, v8
	s_and_b64 s[12:13], s[12:13], s[8:9]
	s_mul_i32 s14, s13, 24
	s_mul_hi_u32 s15, s12, 24
	s_mul_i32 s16, s12, 24
	s_add_i32 s14, s15, s14
	v_mov_b32_e32 v5, s14
	v_add_co_u32_e32 v7, vcc, s16, v0
	v_addc_co_u32_e32 v8, vcc, v1, v5, vcc
	s_and_saveexec_b64 s[14:15], s[4:5]
	s_cbranch_execz .LBB6_63
; %bb.62:
	v_mov_b32_e32 v9, s10
	v_mov_b32_e32 v10, s11
	;; [unrolled: 1-line block ×4, first 2 shown]
	global_store_dwordx4 v[7:8], v[9:12], off offset:8
.LBB6_63:
	s_or_b64 exec, exec, s[14:15]
	s_lshl_b64 s[10:11], s[12:13], 12
	v_mov_b32_e32 v5, s11
	v_add_co_u32_e32 v2, vcc, s10, v2
	v_addc_co_u32_e32 v11, vcc, v3, v5, vcc
	v_lshlrev_b32_e32 v29, 6, v30
	s_mov_b32 s12, 0
	v_mov_b32_e32 v3, 33
	v_mov_b32_e32 v5, v4
	;; [unrolled: 1-line block ×3, first 2 shown]
	v_readfirstlane_b32 s10, v2
	v_readfirstlane_b32 s11, v11
	v_add_co_u32_e32 v9, vcc, v2, v29
	s_mov_b32 s13, s12
	s_mov_b32 s14, s12
	;; [unrolled: 1-line block ×3, first 2 shown]
	s_nop 0
	global_store_dwordx4 v29, v[3:6], s[10:11]
	v_mov_b32_e32 v2, s12
	v_addc_co_u32_e32 v10, vcc, 0, v11, vcc
	v_mov_b32_e32 v3, s13
	v_mov_b32_e32 v4, s14
	;; [unrolled: 1-line block ×3, first 2 shown]
	global_store_dwordx4 v29, v[2:5], s[10:11] offset:16
	global_store_dwordx4 v29, v[2:5], s[10:11] offset:32
	;; [unrolled: 1-line block ×3, first 2 shown]
	s_and_saveexec_b64 s[10:11], s[4:5]
	s_cbranch_execz .LBB6_71
; %bb.64:
	v_mov_b32_e32 v6, 0
	global_load_dwordx2 v[13:14], v6, s[6:7] offset:32 glc
	global_load_dwordx2 v[2:3], v6, s[6:7] offset:40
	v_mov_b32_e32 v11, s8
	v_mov_b32_e32 v12, s9
	s_waitcnt vmcnt(0)
	v_and_b32_e32 v2, s8, v2
	v_and_b32_e32 v3, s9, v3
	v_mul_lo_u32 v3, v3, 24
	v_mul_hi_u32 v4, v2, 24
	v_mul_lo_u32 v2, v2, 24
	v_add_u32_e32 v3, v4, v3
	v_add_co_u32_e32 v4, vcc, v0, v2
	v_addc_co_u32_e32 v5, vcc, v1, v3, vcc
	global_store_dwordx2 v[4:5], v[13:14], off
	s_waitcnt vmcnt(0)
	global_atomic_cmpswap_x2 v[2:3], v6, v[11:14], s[6:7] offset:32 glc
	s_waitcnt vmcnt(0)
	v_cmp_ne_u64_e32 vcc, v[2:3], v[13:14]
	s_and_saveexec_b64 s[12:13], vcc
	s_cbranch_execz .LBB6_67
; %bb.65:
	s_mov_b64 s[14:15], 0
.LBB6_66:                               ; =>This Inner Loop Header: Depth=1
	s_sleep 1
	global_store_dwordx2 v[4:5], v[2:3], off
	v_mov_b32_e32 v0, s8
	v_mov_b32_e32 v1, s9
	s_waitcnt vmcnt(0)
	global_atomic_cmpswap_x2 v[0:1], v6, v[0:3], s[6:7] offset:32 glc
	s_waitcnt vmcnt(0)
	v_cmp_eq_u64_e32 vcc, v[0:1], v[2:3]
	v_mov_b32_e32 v3, v1
	s_or_b64 s[14:15], vcc, s[14:15]
	v_mov_b32_e32 v2, v0
	s_andn2_b64 exec, exec, s[14:15]
	s_cbranch_execnz .LBB6_66
.LBB6_67:
	s_or_b64 exec, exec, s[12:13]
	v_mov_b32_e32 v3, 0
	global_load_dwordx2 v[0:1], v3, s[6:7] offset:16
	s_mov_b64 s[12:13], exec
	v_mbcnt_lo_u32_b32 v2, s12, 0
	v_mbcnt_hi_u32_b32 v2, s13, v2
	v_cmp_eq_u32_e32 vcc, 0, v2
	s_and_saveexec_b64 s[14:15], vcc
	s_cbranch_execz .LBB6_69
; %bb.68:
	s_bcnt1_i32_b64 s12, s[12:13]
	v_mov_b32_e32 v2, s12
	s_waitcnt vmcnt(0)
	global_atomic_add_x2 v[0:1], v[2:3], off offset:8
.LBB6_69:
	s_or_b64 exec, exec, s[14:15]
	s_waitcnt vmcnt(0)
	global_load_dwordx2 v[2:3], v[0:1], off offset:16
	s_waitcnt vmcnt(0)
	v_cmp_eq_u64_e32 vcc, 0, v[2:3]
	s_cbranch_vccnz .LBB6_71
; %bb.70:
	global_load_dword v0, v[0:1], off offset:24
	v_mov_b32_e32 v1, 0
	s_waitcnt vmcnt(0)
	v_readfirstlane_b32 s12, v0
	s_and_b32 m0, s12, 0xffffff
	global_store_dwordx2 v[2:3], v[0:1], off
	s_sendmsg sendmsg(MSG_INTERRUPT)
.LBB6_71:
	s_or_b64 exec, exec, s[10:11]
	s_branch .LBB6_75
.LBB6_72:                               ;   in Loop: Header=BB6_75 Depth=1
	s_or_b64 exec, exec, s[10:11]
	v_readfirstlane_b32 s10, v0
	s_cmp_eq_u32 s10, 0
	s_cbranch_scc1 .LBB6_74
; %bb.73:                               ;   in Loop: Header=BB6_75 Depth=1
	s_sleep 1
	s_cbranch_execnz .LBB6_75
	s_branch .LBB6_77
.LBB6_74:
	s_branch .LBB6_77
.LBB6_75:                               ; =>This Inner Loop Header: Depth=1
	v_mov_b32_e32 v0, 1
	s_and_saveexec_b64 s[10:11], s[4:5]
	s_cbranch_execz .LBB6_72
; %bb.76:                               ;   in Loop: Header=BB6_75 Depth=1
	global_load_dword v0, v[7:8], off offset:20 glc
	s_waitcnt vmcnt(0)
	buffer_wbinvl1_vol
	v_and_b32_e32 v0, 1, v0
	s_branch .LBB6_72
.LBB6_77:
	global_load_dwordx2 v[0:1], v[9:10], off
	s_and_saveexec_b64 s[10:11], s[4:5]
	s_cbranch_execz .LBB6_80
; %bb.78:
	v_mov_b32_e32 v8, 0
	global_load_dwordx2 v[2:3], v8, s[6:7] offset:40
	global_load_dwordx2 v[11:12], v8, s[6:7] offset:24 glc
	global_load_dwordx2 v[4:5], v8, s[6:7]
	s_waitcnt vmcnt(2)
	v_readfirstlane_b32 s12, v2
	v_readfirstlane_b32 s13, v3
	s_add_u32 s14, s12, 1
	s_addc_u32 s15, s13, 0
	s_add_u32 s4, s14, s8
	s_addc_u32 s5, s15, s9
	s_cmp_eq_u64 s[4:5], 0
	s_cselect_b32 s5, s15, s5
	s_cselect_b32 s4, s14, s4
	s_and_b64 s[8:9], s[4:5], s[12:13]
	s_mul_i32 s9, s9, 24
	s_mul_hi_u32 s12, s8, 24
	s_mul_i32 s8, s8, 24
	s_add_i32 s9, s12, s9
	v_mov_b32_e32 v2, s9
	s_waitcnt vmcnt(0)
	v_add_co_u32_e32 v6, vcc, s8, v4
	v_addc_co_u32_e32 v7, vcc, v5, v2, vcc
	v_mov_b32_e32 v9, s4
	global_store_dwordx2 v[6:7], v[11:12], off
	v_mov_b32_e32 v10, s5
	s_waitcnt vmcnt(0)
	global_atomic_cmpswap_x2 v[4:5], v8, v[9:12], s[6:7] offset:24 glc
	s_mov_b64 s[8:9], 0
	s_waitcnt vmcnt(0)
	v_cmp_ne_u64_e32 vcc, v[4:5], v[11:12]
	s_and_b64 exec, exec, vcc
	s_cbranch_execz .LBB6_80
.LBB6_79:                               ; =>This Inner Loop Header: Depth=1
	s_sleep 1
	global_store_dwordx2 v[6:7], v[4:5], off
	v_mov_b32_e32 v2, s4
	v_mov_b32_e32 v3, s5
	s_waitcnt vmcnt(0)
	global_atomic_cmpswap_x2 v[2:3], v8, v[2:5], s[6:7] offset:24 glc
	s_waitcnt vmcnt(0)
	v_cmp_eq_u64_e32 vcc, v[2:3], v[4:5]
	v_mov_b32_e32 v5, v3
	s_or_b64 s[8:9], vcc, s[8:9]
	v_mov_b32_e32 v4, v2
	s_andn2_b64 exec, exec, s[8:9]
	s_cbranch_execnz .LBB6_79
.LBB6_80:
	s_or_b64 exec, exec, s[10:11]
	v_mov_b32_e32 v58, v20
	s_getpc_b64 s[8:9]
	s_add_u32 s8, s8, .str.28@rel32@lo+4
	s_addc_u32 s9, s9, .str.28@rel32@hi+12
	v_mov_b32_e32 v57, v19
	s_cmp_lg_u64 s[8:9], 0
	s_cbranch_scc0 .LBB6_166
; %bb.81:
	s_waitcnt vmcnt(0)
	v_and_b32_e32 v6, -3, v0
	v_mov_b32_e32 v7, v1
	s_mov_b64 s[10:11], 35
	v_mov_b32_e32 v26, 0
	v_mov_b32_e32 v4, 2
	;; [unrolled: 1-line block ×3, first 2 shown]
	s_branch .LBB6_83
.LBB6_82:                               ;   in Loop: Header=BB6_83 Depth=1
	s_or_b64 exec, exec, s[16:17]
	s_sub_u32 s10, s10, s12
	s_subb_u32 s11, s11, s13
	s_add_u32 s8, s8, s12
	s_addc_u32 s9, s9, s13
	s_cmp_lg_u64 s[10:11], 0
	s_cbranch_scc0 .LBB6_165
.LBB6_83:                               ; =>This Loop Header: Depth=1
                                        ;     Child Loop BB6_86 Depth 2
                                        ;     Child Loop BB6_94 Depth 2
	;; [unrolled: 1-line block ×11, first 2 shown]
	v_cmp_lt_u64_e64 s[4:5], s[10:11], 56
	v_cmp_gt_u64_e64 s[14:15], s[10:11], 7
	s_and_b64 s[4:5], s[4:5], exec
	s_cselect_b32 s13, s11, 0
	s_cselect_b32 s12, s10, 56
	s_add_u32 s4, s8, 8
	s_addc_u32 s5, s9, 0
	s_and_b64 vcc, exec, s[14:15]
	s_cbranch_vccnz .LBB6_87
; %bb.84:                               ;   in Loop: Header=BB6_83 Depth=1
	s_cmp_eq_u64 s[10:11], 0
	s_cbranch_scc1 .LBB6_88
; %bb.85:                               ;   in Loop: Header=BB6_83 Depth=1
	s_waitcnt vmcnt(0)
	v_mov_b32_e32 v8, 0
	s_lshl_b64 s[4:5], s[12:13], 3
	s_mov_b64 s[14:15], 0
	v_mov_b32_e32 v9, 0
	s_mov_b64 s[16:17], s[8:9]
.LBB6_86:                               ;   Parent Loop BB6_83 Depth=1
                                        ; =>  This Inner Loop Header: Depth=2
	global_load_ubyte v2, v26, s[16:17]
	s_waitcnt vmcnt(0)
	v_and_b32_e32 v25, 0xffff, v2
	v_lshlrev_b64 v[2:3], s14, v[25:26]
	s_add_u32 s14, s14, 8
	s_addc_u32 s15, s15, 0
	s_add_u32 s16, s16, 1
	s_addc_u32 s17, s17, 0
	v_or_b32_e32 v8, v2, v8
	s_cmp_lg_u32 s4, s14
	v_or_b32_e32 v9, v3, v9
	s_cbranch_scc1 .LBB6_86
	s_branch .LBB6_89
.LBB6_87:                               ;   in Loop: Header=BB6_83 Depth=1
	s_mov_b32 s18, 0
	s_branch .LBB6_90
.LBB6_88:                               ;   in Loop: Header=BB6_83 Depth=1
	s_waitcnt vmcnt(0)
	v_mov_b32_e32 v8, 0
	v_mov_b32_e32 v9, 0
.LBB6_89:                               ;   in Loop: Header=BB6_83 Depth=1
	s_mov_b64 s[4:5], s[8:9]
	s_mov_b32 s18, 0
	s_cbranch_execnz .LBB6_91
.LBB6_90:                               ;   in Loop: Header=BB6_83 Depth=1
	global_load_dwordx2 v[8:9], v26, s[8:9]
	s_add_i32 s18, s12, -8
.LBB6_91:                               ;   in Loop: Header=BB6_83 Depth=1
	s_add_u32 s14, s4, 8
	s_addc_u32 s15, s5, 0
	s_cmp_gt_u32 s18, 7
	s_cbranch_scc1 .LBB6_95
; %bb.92:                               ;   in Loop: Header=BB6_83 Depth=1
	s_cmp_eq_u32 s18, 0
	s_cbranch_scc1 .LBB6_96
; %bb.93:                               ;   in Loop: Header=BB6_83 Depth=1
	v_mov_b32_e32 v10, 0
	s_mov_b64 s[14:15], 0
	v_mov_b32_e32 v11, 0
	s_mov_b64 s[16:17], 0
.LBB6_94:                               ;   Parent Loop BB6_83 Depth=1
                                        ; =>  This Inner Loop Header: Depth=2
	s_add_u32 s20, s4, s16
	s_addc_u32 s21, s5, s17
	global_load_ubyte v2, v26, s[20:21]
	s_add_u32 s16, s16, 1
	s_addc_u32 s17, s17, 0
	s_waitcnt vmcnt(0)
	v_and_b32_e32 v25, 0xffff, v2
	v_lshlrev_b64 v[2:3], s14, v[25:26]
	s_add_u32 s14, s14, 8
	s_addc_u32 s15, s15, 0
	v_or_b32_e32 v10, v2, v10
	s_cmp_lg_u32 s18, s16
	v_or_b32_e32 v11, v3, v11
	s_cbranch_scc1 .LBB6_94
	s_branch .LBB6_97
.LBB6_95:                               ;   in Loop: Header=BB6_83 Depth=1
                                        ; implicit-def: $vgpr10_vgpr11
	s_mov_b32 s19, 0
	s_branch .LBB6_98
.LBB6_96:                               ;   in Loop: Header=BB6_83 Depth=1
	v_mov_b32_e32 v10, 0
	v_mov_b32_e32 v11, 0
.LBB6_97:                               ;   in Loop: Header=BB6_83 Depth=1
	s_mov_b64 s[14:15], s[4:5]
	s_mov_b32 s19, 0
	s_cbranch_execnz .LBB6_99
.LBB6_98:                               ;   in Loop: Header=BB6_83 Depth=1
	global_load_dwordx2 v[10:11], v26, s[4:5]
	s_add_i32 s19, s18, -8
.LBB6_99:                               ;   in Loop: Header=BB6_83 Depth=1
	s_add_u32 s4, s14, 8
	s_addc_u32 s5, s15, 0
	s_cmp_gt_u32 s19, 7
	s_cbranch_scc1 .LBB6_103
; %bb.100:                              ;   in Loop: Header=BB6_83 Depth=1
	s_cmp_eq_u32 s19, 0
	s_cbranch_scc1 .LBB6_104
; %bb.101:                              ;   in Loop: Header=BB6_83 Depth=1
	v_mov_b32_e32 v12, 0
	s_mov_b64 s[4:5], 0
	v_mov_b32_e32 v13, 0
	s_mov_b64 s[16:17], 0
.LBB6_102:                              ;   Parent Loop BB6_83 Depth=1
                                        ; =>  This Inner Loop Header: Depth=2
	s_add_u32 s20, s14, s16
	s_addc_u32 s21, s15, s17
	global_load_ubyte v2, v26, s[20:21]
	s_add_u32 s16, s16, 1
	s_addc_u32 s17, s17, 0
	s_waitcnt vmcnt(0)
	v_and_b32_e32 v25, 0xffff, v2
	v_lshlrev_b64 v[2:3], s4, v[25:26]
	s_add_u32 s4, s4, 8
	s_addc_u32 s5, s5, 0
	v_or_b32_e32 v12, v2, v12
	s_cmp_lg_u32 s19, s16
	v_or_b32_e32 v13, v3, v13
	s_cbranch_scc1 .LBB6_102
	s_branch .LBB6_105
.LBB6_103:                              ;   in Loop: Header=BB6_83 Depth=1
	s_mov_b32 s18, 0
	s_branch .LBB6_106
.LBB6_104:                              ;   in Loop: Header=BB6_83 Depth=1
	v_mov_b32_e32 v12, 0
	v_mov_b32_e32 v13, 0
.LBB6_105:                              ;   in Loop: Header=BB6_83 Depth=1
	s_mov_b64 s[4:5], s[14:15]
	s_mov_b32 s18, 0
	s_cbranch_execnz .LBB6_107
.LBB6_106:                              ;   in Loop: Header=BB6_83 Depth=1
	global_load_dwordx2 v[12:13], v26, s[14:15]
	s_add_i32 s18, s19, -8
.LBB6_107:                              ;   in Loop: Header=BB6_83 Depth=1
	s_add_u32 s14, s4, 8
	s_addc_u32 s15, s5, 0
	s_cmp_gt_u32 s18, 7
	s_cbranch_scc1 .LBB6_111
; %bb.108:                              ;   in Loop: Header=BB6_83 Depth=1
	s_cmp_eq_u32 s18, 0
	s_cbranch_scc1 .LBB6_112
; %bb.109:                              ;   in Loop: Header=BB6_83 Depth=1
	v_mov_b32_e32 v14, 0
	s_mov_b64 s[14:15], 0
	v_mov_b32_e32 v15, 0
	s_mov_b64 s[16:17], 0
.LBB6_110:                              ;   Parent Loop BB6_83 Depth=1
                                        ; =>  This Inner Loop Header: Depth=2
	s_add_u32 s20, s4, s16
	s_addc_u32 s21, s5, s17
	global_load_ubyte v2, v26, s[20:21]
	s_add_u32 s16, s16, 1
	s_addc_u32 s17, s17, 0
	s_waitcnt vmcnt(0)
	v_and_b32_e32 v25, 0xffff, v2
	v_lshlrev_b64 v[2:3], s14, v[25:26]
	s_add_u32 s14, s14, 8
	s_addc_u32 s15, s15, 0
	v_or_b32_e32 v14, v2, v14
	s_cmp_lg_u32 s18, s16
	v_or_b32_e32 v15, v3, v15
	s_cbranch_scc1 .LBB6_110
	s_branch .LBB6_113
.LBB6_111:                              ;   in Loop: Header=BB6_83 Depth=1
                                        ; implicit-def: $vgpr14_vgpr15
	s_mov_b32 s19, 0
	s_branch .LBB6_114
.LBB6_112:                              ;   in Loop: Header=BB6_83 Depth=1
	v_mov_b32_e32 v14, 0
	v_mov_b32_e32 v15, 0
.LBB6_113:                              ;   in Loop: Header=BB6_83 Depth=1
	s_mov_b64 s[14:15], s[4:5]
	s_mov_b32 s19, 0
	s_cbranch_execnz .LBB6_115
.LBB6_114:                              ;   in Loop: Header=BB6_83 Depth=1
	global_load_dwordx2 v[14:15], v26, s[4:5]
	s_add_i32 s19, s18, -8
.LBB6_115:                              ;   in Loop: Header=BB6_83 Depth=1
	s_add_u32 s4, s14, 8
	s_addc_u32 s5, s15, 0
	s_cmp_gt_u32 s19, 7
	s_cbranch_scc1 .LBB6_119
; %bb.116:                              ;   in Loop: Header=BB6_83 Depth=1
	s_cmp_eq_u32 s19, 0
	s_cbranch_scc1 .LBB6_120
; %bb.117:                              ;   in Loop: Header=BB6_83 Depth=1
	v_mov_b32_e32 v16, 0
	s_mov_b64 s[4:5], 0
	v_mov_b32_e32 v17, 0
	s_mov_b64 s[16:17], 0
.LBB6_118:                              ;   Parent Loop BB6_83 Depth=1
                                        ; =>  This Inner Loop Header: Depth=2
	s_add_u32 s20, s14, s16
	s_addc_u32 s21, s15, s17
	global_load_ubyte v2, v26, s[20:21]
	s_add_u32 s16, s16, 1
	s_addc_u32 s17, s17, 0
	s_waitcnt vmcnt(0)
	v_and_b32_e32 v25, 0xffff, v2
	v_lshlrev_b64 v[2:3], s4, v[25:26]
	s_add_u32 s4, s4, 8
	s_addc_u32 s5, s5, 0
	v_or_b32_e32 v16, v2, v16
	s_cmp_lg_u32 s19, s16
	v_or_b32_e32 v17, v3, v17
	s_cbranch_scc1 .LBB6_118
	s_branch .LBB6_121
.LBB6_119:                              ;   in Loop: Header=BB6_83 Depth=1
	s_mov_b32 s18, 0
	s_branch .LBB6_122
.LBB6_120:                              ;   in Loop: Header=BB6_83 Depth=1
	v_mov_b32_e32 v16, 0
	v_mov_b32_e32 v17, 0
.LBB6_121:                              ;   in Loop: Header=BB6_83 Depth=1
	s_mov_b64 s[4:5], s[14:15]
	s_mov_b32 s18, 0
	s_cbranch_execnz .LBB6_123
.LBB6_122:                              ;   in Loop: Header=BB6_83 Depth=1
	global_load_dwordx2 v[16:17], v26, s[14:15]
	s_add_i32 s18, s19, -8
.LBB6_123:                              ;   in Loop: Header=BB6_83 Depth=1
	s_add_u32 s14, s4, 8
	s_addc_u32 s15, s5, 0
	s_cmp_gt_u32 s18, 7
	s_cbranch_scc1 .LBB6_127
; %bb.124:                              ;   in Loop: Header=BB6_83 Depth=1
	s_cmp_eq_u32 s18, 0
	s_cbranch_scc1 .LBB6_128
; %bb.125:                              ;   in Loop: Header=BB6_83 Depth=1
	v_mov_b32_e32 v18, 0
	s_mov_b64 s[14:15], 0
	v_mov_b32_e32 v19, 0
	s_mov_b64 s[16:17], 0
.LBB6_126:                              ;   Parent Loop BB6_83 Depth=1
                                        ; =>  This Inner Loop Header: Depth=2
	s_add_u32 s20, s4, s16
	s_addc_u32 s21, s5, s17
	global_load_ubyte v2, v26, s[20:21]
	s_add_u32 s16, s16, 1
	s_addc_u32 s17, s17, 0
	s_waitcnt vmcnt(0)
	v_and_b32_e32 v25, 0xffff, v2
	v_lshlrev_b64 v[2:3], s14, v[25:26]
	s_add_u32 s14, s14, 8
	s_addc_u32 s15, s15, 0
	v_or_b32_e32 v18, v2, v18
	s_cmp_lg_u32 s18, s16
	v_or_b32_e32 v19, v3, v19
	s_cbranch_scc1 .LBB6_126
	s_branch .LBB6_129
.LBB6_127:                              ;   in Loop: Header=BB6_83 Depth=1
                                        ; implicit-def: $vgpr18_vgpr19
	s_mov_b32 s19, 0
	s_branch .LBB6_130
.LBB6_128:                              ;   in Loop: Header=BB6_83 Depth=1
	v_mov_b32_e32 v18, 0
	v_mov_b32_e32 v19, 0
.LBB6_129:                              ;   in Loop: Header=BB6_83 Depth=1
	s_mov_b64 s[14:15], s[4:5]
	s_mov_b32 s19, 0
	s_cbranch_execnz .LBB6_131
.LBB6_130:                              ;   in Loop: Header=BB6_83 Depth=1
	global_load_dwordx2 v[18:19], v26, s[4:5]
	s_add_i32 s19, s18, -8
.LBB6_131:                              ;   in Loop: Header=BB6_83 Depth=1
	s_cmp_gt_u32 s19, 7
	s_cbranch_scc1 .LBB6_135
; %bb.132:                              ;   in Loop: Header=BB6_83 Depth=1
	s_cmp_eq_u32 s19, 0
	s_cbranch_scc1 .LBB6_136
; %bb.133:                              ;   in Loop: Header=BB6_83 Depth=1
	v_mov_b32_e32 v20, 0
	s_mov_b64 s[4:5], 0
	v_mov_b32_e32 v21, 0
	s_mov_b64 s[16:17], s[14:15]
.LBB6_134:                              ;   Parent Loop BB6_83 Depth=1
                                        ; =>  This Inner Loop Header: Depth=2
	global_load_ubyte v2, v26, s[16:17]
	s_add_i32 s19, s19, -1
	s_waitcnt vmcnt(0)
	v_and_b32_e32 v25, 0xffff, v2
	v_lshlrev_b64 v[2:3], s4, v[25:26]
	s_add_u32 s4, s4, 8
	s_addc_u32 s5, s5, 0
	s_add_u32 s16, s16, 1
	s_addc_u32 s17, s17, 0
	v_or_b32_e32 v20, v2, v20
	s_cmp_lg_u32 s19, 0
	v_or_b32_e32 v21, v3, v21
	s_cbranch_scc1 .LBB6_134
	s_branch .LBB6_137
.LBB6_135:                              ;   in Loop: Header=BB6_83 Depth=1
	s_branch .LBB6_138
.LBB6_136:                              ;   in Loop: Header=BB6_83 Depth=1
	v_mov_b32_e32 v20, 0
	v_mov_b32_e32 v21, 0
.LBB6_137:                              ;   in Loop: Header=BB6_83 Depth=1
	s_cbranch_execnz .LBB6_139
.LBB6_138:                              ;   in Loop: Header=BB6_83 Depth=1
	global_load_dwordx2 v[20:21], v26, s[14:15]
.LBB6_139:                              ;   in Loop: Header=BB6_83 Depth=1
	v_readfirstlane_b32 s4, v30
	v_mov_b32_e32 v2, 0
	v_mov_b32_e32 v3, 0
	v_cmp_eq_u32_e64 s[4:5], s4, v30
	s_and_saveexec_b64 s[14:15], s[4:5]
	s_cbranch_execz .LBB6_145
; %bb.140:                              ;   in Loop: Header=BB6_83 Depth=1
	global_load_dwordx2 v[24:25], v26, s[6:7] offset:24 glc
	s_waitcnt vmcnt(0)
	buffer_wbinvl1_vol
	global_load_dwordx2 v[2:3], v26, s[6:7] offset:40
	global_load_dwordx2 v[22:23], v26, s[6:7]
	s_waitcnt vmcnt(1)
	v_and_b32_e32 v2, v2, v24
	v_and_b32_e32 v3, v3, v25
	v_mul_lo_u32 v3, v3, 24
	v_mul_hi_u32 v27, v2, 24
	v_mul_lo_u32 v2, v2, 24
	v_add_u32_e32 v3, v27, v3
	s_waitcnt vmcnt(0)
	v_add_co_u32_e32 v2, vcc, v22, v2
	v_addc_co_u32_e32 v3, vcc, v23, v3, vcc
	global_load_dwordx2 v[22:23], v[2:3], off glc
	s_waitcnt vmcnt(0)
	global_atomic_cmpswap_x2 v[2:3], v26, v[22:25], s[6:7] offset:24 glc
	s_waitcnt vmcnt(0)
	buffer_wbinvl1_vol
	v_cmp_ne_u64_e32 vcc, v[2:3], v[24:25]
	s_and_saveexec_b64 s[16:17], vcc
	s_cbranch_execz .LBB6_144
; %bb.141:                              ;   in Loop: Header=BB6_83 Depth=1
	s_mov_b64 s[18:19], 0
.LBB6_142:                              ;   Parent Loop BB6_83 Depth=1
                                        ; =>  This Inner Loop Header: Depth=2
	s_sleep 1
	global_load_dwordx2 v[22:23], v26, s[6:7] offset:40
	global_load_dwordx2 v[27:28], v26, s[6:7]
	v_mov_b32_e32 v25, v3
	v_mov_b32_e32 v24, v2
	s_waitcnt vmcnt(1)
	v_and_b32_e32 v2, v22, v24
	s_waitcnt vmcnt(0)
	v_mad_u64_u32 v[2:3], s[20:21], v2, 24, v[27:28]
	v_and_b32_e32 v22, v23, v25
	v_mad_u64_u32 v[22:23], s[20:21], v22, 24, v[3:4]
	v_mov_b32_e32 v3, v22
	global_load_dwordx2 v[22:23], v[2:3], off glc
	s_waitcnt vmcnt(0)
	global_atomic_cmpswap_x2 v[2:3], v26, v[22:25], s[6:7] offset:24 glc
	s_waitcnt vmcnt(0)
	buffer_wbinvl1_vol
	v_cmp_eq_u64_e32 vcc, v[2:3], v[24:25]
	s_or_b64 s[18:19], vcc, s[18:19]
	s_andn2_b64 exec, exec, s[18:19]
	s_cbranch_execnz .LBB6_142
; %bb.143:                              ;   in Loop: Header=BB6_83 Depth=1
	s_or_b64 exec, exec, s[18:19]
.LBB6_144:                              ;   in Loop: Header=BB6_83 Depth=1
	s_or_b64 exec, exec, s[16:17]
.LBB6_145:                              ;   in Loop: Header=BB6_83 Depth=1
	s_or_b64 exec, exec, s[14:15]
	global_load_dwordx2 v[27:28], v26, s[6:7] offset:40
	global_load_dwordx4 v[22:25], v26, s[6:7]
	v_readfirstlane_b32 s15, v3
	v_readfirstlane_b32 s14, v2
	s_mov_b64 s[16:17], exec
	s_waitcnt vmcnt(1)
	v_readfirstlane_b32 s18, v27
	v_readfirstlane_b32 s19, v28
	s_and_b64 s[18:19], s[18:19], s[14:15]
	s_mul_i32 s20, s19, 24
	s_mul_hi_u32 s21, s18, 24
	s_mul_i32 s22, s18, 24
	s_add_i32 s20, s21, s20
	v_mov_b32_e32 v2, s20
	s_waitcnt vmcnt(0)
	v_add_co_u32_e32 v27, vcc, s22, v22
	v_addc_co_u32_e32 v28, vcc, v23, v2, vcc
	s_and_saveexec_b64 s[20:21], s[4:5]
	s_cbranch_execz .LBB6_147
; %bb.146:                              ;   in Loop: Header=BB6_83 Depth=1
	v_mov_b32_e32 v2, s16
	v_mov_b32_e32 v3, s17
	global_store_dwordx4 v[27:28], v[2:5], off offset:8
.LBB6_147:                              ;   in Loop: Header=BB6_83 Depth=1
	s_or_b64 exec, exec, s[20:21]
	s_lshl_b64 s[16:17], s[18:19], 12
	v_cmp_gt_u64_e64 s[18:19], s[10:11], 56
	v_mov_b32_e32 v2, s17
	v_add_co_u32_e32 v24, vcc, s16, v24
	s_and_b64 s[16:17], s[18:19], exec
	s_cselect_b32 s16, 0, 2
	s_lshl_b32 s17, s12, 2
	v_addc_co_u32_e32 v31, vcc, v25, v2, vcc
	s_add_i32 s17, s17, 28
	v_and_b32_e32 v2, 0xffffff1f, v6
	s_and_b32 s17, s17, 0x1e0
	v_or_b32_e32 v2, s16, v2
	v_or_b32_e32 v6, s17, v2
	v_readfirstlane_b32 s16, v24
	v_readfirstlane_b32 s17, v31
	s_nop 4
	global_store_dwordx4 v29, v[6:9], s[16:17]
	global_store_dwordx4 v29, v[10:13], s[16:17] offset:16
	global_store_dwordx4 v29, v[14:17], s[16:17] offset:32
	;; [unrolled: 1-line block ×3, first 2 shown]
	s_and_saveexec_b64 s[16:17], s[4:5]
	s_cbranch_execz .LBB6_155
; %bb.148:                              ;   in Loop: Header=BB6_83 Depth=1
	global_load_dwordx2 v[10:11], v26, s[6:7] offset:32 glc
	global_load_dwordx2 v[2:3], v26, s[6:7] offset:40
	v_mov_b32_e32 v8, s14
	v_mov_b32_e32 v9, s15
	s_waitcnt vmcnt(0)
	v_readfirstlane_b32 s18, v2
	v_readfirstlane_b32 s19, v3
	s_and_b64 s[18:19], s[18:19], s[14:15]
	s_mul_i32 s19, s19, 24
	s_mul_hi_u32 s20, s18, 24
	s_mul_i32 s18, s18, 24
	s_add_i32 s19, s20, s19
	v_mov_b32_e32 v3, s19
	v_add_co_u32_e32 v2, vcc, s18, v22
	v_addc_co_u32_e32 v3, vcc, v23, v3, vcc
	global_store_dwordx2 v[2:3], v[10:11], off
	s_waitcnt vmcnt(0)
	global_atomic_cmpswap_x2 v[8:9], v26, v[8:11], s[6:7] offset:32 glc
	s_waitcnt vmcnt(0)
	v_cmp_ne_u64_e32 vcc, v[8:9], v[10:11]
	s_and_saveexec_b64 s[18:19], vcc
	s_cbranch_execz .LBB6_151
; %bb.149:                              ;   in Loop: Header=BB6_83 Depth=1
	s_mov_b64 s[20:21], 0
.LBB6_150:                              ;   Parent Loop BB6_83 Depth=1
                                        ; =>  This Inner Loop Header: Depth=2
	s_sleep 1
	global_store_dwordx2 v[2:3], v[8:9], off
	v_mov_b32_e32 v6, s14
	v_mov_b32_e32 v7, s15
	s_waitcnt vmcnt(0)
	global_atomic_cmpswap_x2 v[6:7], v26, v[6:9], s[6:7] offset:32 glc
	s_waitcnt vmcnt(0)
	v_cmp_eq_u64_e32 vcc, v[6:7], v[8:9]
	v_mov_b32_e32 v9, v7
	s_or_b64 s[20:21], vcc, s[20:21]
	v_mov_b32_e32 v8, v6
	s_andn2_b64 exec, exec, s[20:21]
	s_cbranch_execnz .LBB6_150
.LBB6_151:                              ;   in Loop: Header=BB6_83 Depth=1
	s_or_b64 exec, exec, s[18:19]
	global_load_dwordx2 v[2:3], v26, s[6:7] offset:16
	s_mov_b64 s[20:21], exec
	v_mbcnt_lo_u32_b32 v6, s20, 0
	v_mbcnt_hi_u32_b32 v6, s21, v6
	v_cmp_eq_u32_e32 vcc, 0, v6
	s_and_saveexec_b64 s[18:19], vcc
	s_cbranch_execz .LBB6_153
; %bb.152:                              ;   in Loop: Header=BB6_83 Depth=1
	s_bcnt1_i32_b64 s20, s[20:21]
	v_mov_b32_e32 v25, s20
	s_waitcnt vmcnt(0)
	global_atomic_add_x2 v[2:3], v[25:26], off offset:8
.LBB6_153:                              ;   in Loop: Header=BB6_83 Depth=1
	s_or_b64 exec, exec, s[18:19]
	s_waitcnt vmcnt(0)
	global_load_dwordx2 v[6:7], v[2:3], off offset:16
	s_waitcnt vmcnt(0)
	v_cmp_eq_u64_e32 vcc, 0, v[6:7]
	s_cbranch_vccnz .LBB6_155
; %bb.154:                              ;   in Loop: Header=BB6_83 Depth=1
	global_load_dword v25, v[2:3], off offset:24
	s_waitcnt vmcnt(0)
	v_readfirstlane_b32 s18, v25
	s_and_b32 m0, s18, 0xffffff
	global_store_dwordx2 v[6:7], v[25:26], off
	s_sendmsg sendmsg(MSG_INTERRUPT)
.LBB6_155:                              ;   in Loop: Header=BB6_83 Depth=1
	s_or_b64 exec, exec, s[16:17]
	v_add_co_u32_e32 v2, vcc, v24, v29
	v_addc_co_u32_e32 v3, vcc, 0, v31, vcc
	s_branch .LBB6_159
.LBB6_156:                              ;   in Loop: Header=BB6_159 Depth=2
	s_or_b64 exec, exec, s[16:17]
	v_readfirstlane_b32 s16, v6
	s_cmp_eq_u32 s16, 0
	s_cbranch_scc1 .LBB6_158
; %bb.157:                              ;   in Loop: Header=BB6_159 Depth=2
	s_sleep 1
	s_cbranch_execnz .LBB6_159
	s_branch .LBB6_161
.LBB6_158:                              ;   in Loop: Header=BB6_83 Depth=1
	s_branch .LBB6_161
.LBB6_159:                              ;   Parent Loop BB6_83 Depth=1
                                        ; =>  This Inner Loop Header: Depth=2
	v_mov_b32_e32 v6, 1
	s_and_saveexec_b64 s[16:17], s[4:5]
	s_cbranch_execz .LBB6_156
; %bb.160:                              ;   in Loop: Header=BB6_159 Depth=2
	global_load_dword v6, v[27:28], off offset:20 glc
	s_waitcnt vmcnt(0)
	buffer_wbinvl1_vol
	v_and_b32_e32 v6, 1, v6
	s_branch .LBB6_156
.LBB6_161:                              ;   in Loop: Header=BB6_83 Depth=1
	global_load_dwordx4 v[6:9], v[2:3], off
	s_and_saveexec_b64 s[16:17], s[4:5]
	s_cbranch_execz .LBB6_82
; %bb.162:                              ;   in Loop: Header=BB6_83 Depth=1
	global_load_dwordx2 v[2:3], v26, s[6:7] offset:40
	global_load_dwordx2 v[12:13], v26, s[6:7] offset:24 glc
	global_load_dwordx2 v[8:9], v26, s[6:7]
	s_waitcnt vmcnt(2)
	v_readfirstlane_b32 s18, v2
	v_readfirstlane_b32 s19, v3
	s_add_u32 s20, s18, 1
	s_addc_u32 s21, s19, 0
	s_add_u32 s4, s20, s14
	s_addc_u32 s5, s21, s15
	s_cmp_eq_u64 s[4:5], 0
	s_cselect_b32 s5, s21, s5
	s_cselect_b32 s4, s20, s4
	s_and_b64 s[14:15], s[4:5], s[18:19]
	s_mul_i32 s15, s15, 24
	s_mul_hi_u32 s18, s14, 24
	s_mul_i32 s14, s14, 24
	s_add_i32 s15, s18, s15
	v_mov_b32_e32 v3, s15
	s_waitcnt vmcnt(0)
	v_add_co_u32_e32 v2, vcc, s14, v8
	v_addc_co_u32_e32 v3, vcc, v9, v3, vcc
	v_mov_b32_e32 v10, s4
	global_store_dwordx2 v[2:3], v[12:13], off
	v_mov_b32_e32 v11, s5
	s_waitcnt vmcnt(0)
	global_atomic_cmpswap_x2 v[10:11], v26, v[10:13], s[6:7] offset:24 glc
	s_waitcnt vmcnt(0)
	v_cmp_ne_u64_e32 vcc, v[10:11], v[12:13]
	s_and_b64 exec, exec, vcc
	s_cbranch_execz .LBB6_82
; %bb.163:                              ;   in Loop: Header=BB6_83 Depth=1
	s_mov_b64 s[14:15], 0
.LBB6_164:                              ;   Parent Loop BB6_83 Depth=1
                                        ; =>  This Inner Loop Header: Depth=2
	s_sleep 1
	global_store_dwordx2 v[2:3], v[10:11], off
	v_mov_b32_e32 v8, s4
	v_mov_b32_e32 v9, s5
	s_waitcnt vmcnt(0)
	global_atomic_cmpswap_x2 v[8:9], v26, v[8:11], s[6:7] offset:24 glc
	s_waitcnt vmcnt(0)
	v_cmp_eq_u64_e32 vcc, v[8:9], v[10:11]
	v_mov_b32_e32 v11, v9
	s_or_b64 s[14:15], vcc, s[14:15]
	v_mov_b32_e32 v10, v8
	s_andn2_b64 exec, exec, s[14:15]
	s_cbranch_execnz .LBB6_164
	s_branch .LBB6_82
.LBB6_165:
	s_mov_b64 s[4:5], 0
	s_branch .LBB6_167
.LBB6_166:
	s_mov_b64 s[4:5], -1
.LBB6_167:
	s_and_b64 vcc, exec, s[4:5]
	s_cbranch_vccz .LBB6_194
; %bb.168:
	v_readfirstlane_b32 s4, v30
	s_waitcnt vmcnt(0)
	v_mov_b32_e32 v8, 0
	v_mov_b32_e32 v9, 0
	v_cmp_eq_u32_e64 s[4:5], s4, v30
	s_and_saveexec_b64 s[8:9], s[4:5]
	s_cbranch_execz .LBB6_174
; %bb.169:
	v_mov_b32_e32 v2, 0
	global_load_dwordx2 v[5:6], v2, s[6:7] offset:24 glc
	s_waitcnt vmcnt(0)
	buffer_wbinvl1_vol
	global_load_dwordx2 v[3:4], v2, s[6:7] offset:40
	global_load_dwordx2 v[7:8], v2, s[6:7]
	s_waitcnt vmcnt(1)
	v_and_b32_e32 v3, v3, v5
	v_and_b32_e32 v4, v4, v6
	v_mul_lo_u32 v4, v4, 24
	v_mul_hi_u32 v9, v3, 24
	v_mul_lo_u32 v3, v3, 24
	v_add_u32_e32 v4, v9, v4
	s_waitcnt vmcnt(0)
	v_add_co_u32_e32 v3, vcc, v7, v3
	v_addc_co_u32_e32 v4, vcc, v8, v4, vcc
	global_load_dwordx2 v[3:4], v[3:4], off glc
	s_waitcnt vmcnt(0)
	global_atomic_cmpswap_x2 v[8:9], v2, v[3:6], s[6:7] offset:24 glc
	s_waitcnt vmcnt(0)
	buffer_wbinvl1_vol
	v_cmp_ne_u64_e32 vcc, v[8:9], v[5:6]
	s_and_saveexec_b64 s[10:11], vcc
	s_cbranch_execz .LBB6_173
; %bb.170:
	s_mov_b64 s[12:13], 0
.LBB6_171:                              ; =>This Inner Loop Header: Depth=1
	s_sleep 1
	global_load_dwordx2 v[3:4], v2, s[6:7] offset:40
	global_load_dwordx2 v[10:11], v2, s[6:7]
	v_mov_b32_e32 v5, v8
	v_mov_b32_e32 v6, v9
	s_waitcnt vmcnt(1)
	v_and_b32_e32 v3, v3, v5
	s_waitcnt vmcnt(0)
	v_mad_u64_u32 v[7:8], s[14:15], v3, 24, v[10:11]
	v_and_b32_e32 v4, v4, v6
	v_mov_b32_e32 v3, v8
	v_mad_u64_u32 v[3:4], s[14:15], v4, 24, v[3:4]
	v_mov_b32_e32 v8, v3
	global_load_dwordx2 v[3:4], v[7:8], off glc
	s_waitcnt vmcnt(0)
	global_atomic_cmpswap_x2 v[8:9], v2, v[3:6], s[6:7] offset:24 glc
	s_waitcnt vmcnt(0)
	buffer_wbinvl1_vol
	v_cmp_eq_u64_e32 vcc, v[8:9], v[5:6]
	s_or_b64 s[12:13], vcc, s[12:13]
	s_andn2_b64 exec, exec, s[12:13]
	s_cbranch_execnz .LBB6_171
; %bb.172:
	s_or_b64 exec, exec, s[12:13]
.LBB6_173:
	s_or_b64 exec, exec, s[10:11]
.LBB6_174:
	s_or_b64 exec, exec, s[8:9]
	v_mov_b32_e32 v2, 0
	global_load_dwordx2 v[10:11], v2, s[6:7] offset:40
	global_load_dwordx4 v[4:7], v2, s[6:7]
	v_readfirstlane_b32 s9, v9
	v_readfirstlane_b32 s8, v8
	s_mov_b64 s[10:11], exec
	s_waitcnt vmcnt(1)
	v_readfirstlane_b32 s12, v10
	v_readfirstlane_b32 s13, v11
	s_and_b64 s[12:13], s[12:13], s[8:9]
	s_mul_i32 s14, s13, 24
	s_mul_hi_u32 s15, s12, 24
	s_mul_i32 s16, s12, 24
	s_add_i32 s14, s15, s14
	v_mov_b32_e32 v3, s14
	s_waitcnt vmcnt(0)
	v_add_co_u32_e32 v8, vcc, s16, v4
	v_addc_co_u32_e32 v9, vcc, v5, v3, vcc
	s_and_saveexec_b64 s[14:15], s[4:5]
	s_cbranch_execz .LBB6_176
; %bb.175:
	v_mov_b32_e32 v10, s10
	v_mov_b32_e32 v11, s11
	v_mov_b32_e32 v12, 2
	v_mov_b32_e32 v13, 1
	global_store_dwordx4 v[8:9], v[10:13], off offset:8
.LBB6_176:
	s_or_b64 exec, exec, s[14:15]
	s_lshl_b64 s[10:11], s[12:13], 12
	v_mov_b32_e32 v3, s11
	v_add_co_u32_e32 v6, vcc, s10, v6
	v_addc_co_u32_e32 v7, vcc, v7, v3, vcc
	s_movk_i32 s10, 0xff1d
	v_and_or_b32 v0, v0, s10, 34
	s_mov_b32 s12, 0
	v_mov_b32_e32 v3, v2
	v_readfirstlane_b32 s10, v6
	v_readfirstlane_b32 s11, v7
	s_mov_b32 s13, s12
	s_mov_b32 s14, s12
	;; [unrolled: 1-line block ×3, first 2 shown]
	s_nop 1
	global_store_dwordx4 v29, v[0:3], s[10:11]
	s_nop 0
	v_mov_b32_e32 v0, s12
	v_mov_b32_e32 v1, s13
	;; [unrolled: 1-line block ×4, first 2 shown]
	global_store_dwordx4 v29, v[0:3], s[10:11] offset:16
	global_store_dwordx4 v29, v[0:3], s[10:11] offset:32
	global_store_dwordx4 v29, v[0:3], s[10:11] offset:48
	s_and_saveexec_b64 s[10:11], s[4:5]
	s_cbranch_execz .LBB6_184
; %bb.177:
	v_mov_b32_e32 v6, 0
	global_load_dwordx2 v[12:13], v6, s[6:7] offset:32 glc
	global_load_dwordx2 v[0:1], v6, s[6:7] offset:40
	v_mov_b32_e32 v10, s8
	v_mov_b32_e32 v11, s9
	s_waitcnt vmcnt(0)
	v_readfirstlane_b32 s12, v0
	v_readfirstlane_b32 s13, v1
	s_and_b64 s[12:13], s[12:13], s[8:9]
	s_mul_i32 s13, s13, 24
	s_mul_hi_u32 s14, s12, 24
	s_mul_i32 s12, s12, 24
	s_add_i32 s13, s14, s13
	v_mov_b32_e32 v0, s13
	v_add_co_u32_e32 v4, vcc, s12, v4
	v_addc_co_u32_e32 v5, vcc, v5, v0, vcc
	global_store_dwordx2 v[4:5], v[12:13], off
	s_waitcnt vmcnt(0)
	global_atomic_cmpswap_x2 v[2:3], v6, v[10:13], s[6:7] offset:32 glc
	s_waitcnt vmcnt(0)
	v_cmp_ne_u64_e32 vcc, v[2:3], v[12:13]
	s_and_saveexec_b64 s[12:13], vcc
	s_cbranch_execz .LBB6_180
; %bb.178:
	s_mov_b64 s[14:15], 0
.LBB6_179:                              ; =>This Inner Loop Header: Depth=1
	s_sleep 1
	global_store_dwordx2 v[4:5], v[2:3], off
	v_mov_b32_e32 v0, s8
	v_mov_b32_e32 v1, s9
	s_waitcnt vmcnt(0)
	global_atomic_cmpswap_x2 v[0:1], v6, v[0:3], s[6:7] offset:32 glc
	s_waitcnt vmcnt(0)
	v_cmp_eq_u64_e32 vcc, v[0:1], v[2:3]
	v_mov_b32_e32 v3, v1
	s_or_b64 s[14:15], vcc, s[14:15]
	v_mov_b32_e32 v2, v0
	s_andn2_b64 exec, exec, s[14:15]
	s_cbranch_execnz .LBB6_179
.LBB6_180:
	s_or_b64 exec, exec, s[12:13]
	v_mov_b32_e32 v3, 0
	global_load_dwordx2 v[0:1], v3, s[6:7] offset:16
	s_mov_b64 s[12:13], exec
	v_mbcnt_lo_u32_b32 v2, s12, 0
	v_mbcnt_hi_u32_b32 v2, s13, v2
	v_cmp_eq_u32_e32 vcc, 0, v2
	s_and_saveexec_b64 s[14:15], vcc
	s_cbranch_execz .LBB6_182
; %bb.181:
	s_bcnt1_i32_b64 s12, s[12:13]
	v_mov_b32_e32 v2, s12
	s_waitcnt vmcnt(0)
	global_atomic_add_x2 v[0:1], v[2:3], off offset:8
.LBB6_182:
	s_or_b64 exec, exec, s[14:15]
	s_waitcnt vmcnt(0)
	global_load_dwordx2 v[2:3], v[0:1], off offset:16
	s_waitcnt vmcnt(0)
	v_cmp_eq_u64_e32 vcc, 0, v[2:3]
	s_cbranch_vccnz .LBB6_184
; %bb.183:
	global_load_dword v0, v[0:1], off offset:24
	v_mov_b32_e32 v1, 0
	s_waitcnt vmcnt(0)
	v_readfirstlane_b32 s12, v0
	s_and_b32 m0, s12, 0xffffff
	global_store_dwordx2 v[2:3], v[0:1], off
	s_sendmsg sendmsg(MSG_INTERRUPT)
.LBB6_184:
	s_or_b64 exec, exec, s[10:11]
	s_branch .LBB6_188
.LBB6_185:                              ;   in Loop: Header=BB6_188 Depth=1
	s_or_b64 exec, exec, s[10:11]
	v_readfirstlane_b32 s10, v0
	s_cmp_eq_u32 s10, 0
	s_cbranch_scc1 .LBB6_187
; %bb.186:                              ;   in Loop: Header=BB6_188 Depth=1
	s_sleep 1
	s_cbranch_execnz .LBB6_188
	s_branch .LBB6_190
.LBB6_187:
	s_branch .LBB6_190
.LBB6_188:                              ; =>This Inner Loop Header: Depth=1
	v_mov_b32_e32 v0, 1
	s_and_saveexec_b64 s[10:11], s[4:5]
	s_cbranch_execz .LBB6_185
; %bb.189:                              ;   in Loop: Header=BB6_188 Depth=1
	global_load_dword v0, v[8:9], off offset:20 glc
	s_waitcnt vmcnt(0)
	buffer_wbinvl1_vol
	v_and_b32_e32 v0, 1, v0
	s_branch .LBB6_185
.LBB6_190:
	s_and_saveexec_b64 s[10:11], s[4:5]
	s_cbranch_execz .LBB6_193
; %bb.191:
	v_mov_b32_e32 v6, 0
	global_load_dwordx2 v[0:1], v6, s[6:7] offset:40
	global_load_dwordx2 v[9:10], v6, s[6:7] offset:24 glc
	global_load_dwordx2 v[2:3], v6, s[6:7]
	s_waitcnt vmcnt(2)
	v_readfirstlane_b32 s12, v0
	v_readfirstlane_b32 s13, v1
	s_add_u32 s14, s12, 1
	s_addc_u32 s15, s13, 0
	s_add_u32 s4, s14, s8
	s_addc_u32 s5, s15, s9
	s_cmp_eq_u64 s[4:5], 0
	s_cselect_b32 s5, s15, s5
	s_cselect_b32 s4, s14, s4
	s_and_b64 s[8:9], s[4:5], s[12:13]
	s_mul_i32 s9, s9, 24
	s_mul_hi_u32 s12, s8, 24
	s_mul_i32 s8, s8, 24
	s_add_i32 s9, s12, s9
	v_mov_b32_e32 v0, s9
	s_waitcnt vmcnt(0)
	v_add_co_u32_e32 v4, vcc, s8, v2
	v_addc_co_u32_e32 v5, vcc, v3, v0, vcc
	v_mov_b32_e32 v7, s4
	global_store_dwordx2 v[4:5], v[9:10], off
	v_mov_b32_e32 v8, s5
	s_waitcnt vmcnt(0)
	global_atomic_cmpswap_x2 v[2:3], v6, v[7:10], s[6:7] offset:24 glc
	s_mov_b64 s[8:9], 0
	s_waitcnt vmcnt(0)
	v_cmp_ne_u64_e32 vcc, v[2:3], v[9:10]
	s_and_b64 exec, exec, vcc
	s_cbranch_execz .LBB6_193
.LBB6_192:                              ; =>This Inner Loop Header: Depth=1
	s_sleep 1
	global_store_dwordx2 v[4:5], v[2:3], off
	v_mov_b32_e32 v0, s4
	v_mov_b32_e32 v1, s5
	s_waitcnt vmcnt(0)
	global_atomic_cmpswap_x2 v[0:1], v6, v[0:3], s[6:7] offset:24 glc
	s_waitcnt vmcnt(0)
	v_cmp_eq_u64_e32 vcc, v[0:1], v[2:3]
	v_mov_b32_e32 v3, v1
	s_or_b64 s[8:9], vcc, s[8:9]
	v_mov_b32_e32 v2, v0
	s_andn2_b64 exec, exec, s[8:9]
	s_cbranch_execnz .LBB6_192
.LBB6_193:
	s_or_b64 exec, exec, s[10:11]
.LBB6_194:
	s_getpc_b64 s[4:5]
	s_add_u32 s4, s4, .str.29@rel32@lo+4
	s_addc_u32 s5, s5, .str.29@rel32@hi+12
	s_getpc_b64 s[6:7]
	s_add_u32 s6, s6, .str.19@rel32@lo+4
	s_addc_u32 s7, s7, .str.19@rel32@hi+12
	s_getpc_b64 s[10:11]
	s_add_u32 s10, s10, __PRETTY_FUNCTION__._ZN7VecsMemIjLi8192EE5fetchEi@rel32@lo+4
	s_addc_u32 s11, s11, __PRETTY_FUNCTION__._ZN7VecsMemIjLi8192EE5fetchEi@rel32@hi+12
	s_getpc_b64 s[12:13]
	s_add_u32 s12, s12, __assert_fail@rel32@lo+4
	s_addc_u32 s13, s13, __assert_fail@rel32@hi+12
	s_mov_b64 s[8:9], s[64:65]
	s_waitcnt vmcnt(0)
	v_mov_b32_e32 v0, s4
	v_mov_b32_e32 v1, s5
	;; [unrolled: 1-line block ×7, first 2 shown]
	s_swappc_b64 s[30:31], s[12:13]
	v_mov_b32_e32 v19, v57
	s_or_b64 s[4:5], s[70:71], exec
	v_mov_b32_e32 v20, v58
.LBB6_195:
	s_or_b64 exec, exec, s[28:29]
	s_andn2_b64 s[6:7], s[70:71], exec
	s_and_b64 s[4:5], s[4:5], exec
	s_or_b64 s[28:29], s[6:7], s[4:5]
	s_orn2_b64 s[4:5], s[56:57], exec
.LBB6_196:
	s_or_b64 exec, exec, s[40:41]
	s_mov_b64 s[6:7], 0
                                        ; implicit-def: $vgpr55
                                        ; implicit-def: $vgpr58_vgpr59
	s_and_saveexec_b64 s[40:41], s[4:5]
	s_cbranch_execz .LBB6_408
; %bb.197:
	flat_load_dwordx2 v[58:59], v[53:54] offset:8
	v_mov_b32_e32 v1, 0
	s_mov_b32 s15, 0
	s_mov_b64 s[12:13], 0
	v_mov_b32_e32 v41, 0
	v_mov_b32_e32 v55, v1
	s_mov_b32 s16, s15
	v_mov_b32_e32 v6, 0
	buffer_store_dword v20, off, s[0:3], s33 offset:148
	buffer_store_dword v19, off, s[0:3], s33 offset:144
                                        ; implicit-def: $sgpr10_sgpr11
	s_branch .LBB6_199
.LBB6_198:                              ;   in Loop: Header=BB6_199 Depth=1
	s_or_b64 exec, exec, s[18:19]
	s_xor_b64 s[4:5], s[8:9], -1
	s_and_b64 s[6:7], exec, s[6:7]
	s_or_b64 s[12:13], s[6:7], s[12:13]
	s_andn2_b64 s[6:7], s[10:11], exec
	s_and_b64 s[4:5], s[4:5], exec
	s_or_b64 s[10:11], s[6:7], s[4:5]
	s_andn2_b64 exec, exec, s[12:13]
	s_cbranch_execz .LBB6_239
.LBB6_199:                              ; =>This Loop Header: Depth=1
                                        ;     Child Loop BB6_202 Depth 2
                                        ;     Child Loop BB6_207 Depth 2
                                        ;       Child Loop BB6_211 Depth 3
                                        ;     Child Loop BB6_220 Depth 2
                                        ;       Child Loop BB6_224 Depth 3
	s_mov_b32 s17, s15
	s_lshl_b64 s[4:5], s[16:17], 2
	v_mov_b32_e32 v0, s5
	s_waitcnt vmcnt(0) lgkmcnt(0)
	v_add_co_u32_e32 v2, vcc, s4, v58
	v_addc_co_u32_e32 v3, vcc, v59, v0, vcc
	flat_load_dword v0, v[2:3]
	s_mov_b64 s[4:5], -1
	s_waitcnt vmcnt(0) lgkmcnt(0)
	v_cmp_lt_i32_e32 vcc, -1, v0
	s_and_saveexec_b64 s[18:19], vcc
	s_cbranch_execz .LBB6_237
; %bb.200:                              ;   in Loop: Header=BB6_199 Depth=1
	v_mov_b32_e32 v4, v60
	s_mov_b32 s14, 0
	s_mov_b64 s[4:5], 0
	v_mov_b32_e32 v5, v61
                                        ; implicit-def: $sgpr6_sgpr7
	s_branch .LBB6_202
.LBB6_201:                              ;   in Loop: Header=BB6_202 Depth=2
	s_or_b64 exec, exec, s[8:9]
	s_and_b64 s[8:9], exec, s[6:7]
	s_or_b64 s[4:5], s[8:9], s[4:5]
	s_andn2_b64 exec, exec, s[4:5]
	s_cbranch_execz .LBB6_204
.LBB6_202:                              ;   Parent Loop BB6_199 Depth=1
                                        ; =>  This Inner Loop Header: Depth=2
	flat_load_dword v8, v[4:5]
	v_mov_b32_e32 v7, s14
	s_or_b64 s[6:7], s[6:7], exec
	s_waitcnt vmcnt(0) lgkmcnt(0)
	v_and_b32_e32 v9, v8, v0
	v_cmp_ne_u32_e32 vcc, v9, v8
	s_and_saveexec_b64 s[8:9], vcc
	s_cbranch_execz .LBB6_201
; %bb.203:                              ;   in Loop: Header=BB6_202 Depth=2
	v_add_co_u32_e32 v4, vcc, 4, v4
	s_add_i32 s14, s14, 1
	v_addc_co_u32_e32 v5, vcc, 0, v5, vcc
	v_cmp_eq_u32_e32 vcc, s14, v46
	s_andn2_b64 s[6:7], s[6:7], exec
	s_and_b64 s[20:21], vcc, exec
	s_or_b64 s[6:7], s[6:7], s[20:21]
	v_mov_b32_e32 v7, v46
	s_branch .LBB6_201
.LBB6_204:                              ;   in Loop: Header=BB6_199 Depth=1
	s_or_b64 exec, exec, s[4:5]
	v_cmp_ne_u32_e32 vcc, v7, v46
	s_mov_b64 s[4:5], -1
	s_and_saveexec_b64 s[20:21], vcc
	s_cbranch_execz .LBB6_236
; %bb.205:                              ;   in Loop: Header=BB6_199 Depth=1
	v_bfi_b32 v8, v8, 0, v0
	s_mov_b32 s14, 0
	v_cmp_lt_i32_e32 vcc, 0, v56
	s_mov_b64 s[22:23], 0
	s_branch .LBB6_207
.LBB6_206:                              ;   in Loop: Header=BB6_207 Depth=2
	s_or_b64 exec, exec, s[8:9]
	s_and_b64 s[4:5], exec, s[24:25]
	s_or_b64 s[22:23], s[4:5], s[22:23]
	s_andn2_b64 exec, exec, s[22:23]
	s_cbranch_execz .LBB6_217
.LBB6_207:                              ;   Parent Loop BB6_199 Depth=1
                                        ; =>  This Loop Header: Depth=2
                                        ;       Child Loop BB6_211 Depth 3
	v_cmp_ne_u32_e64 s[4:5], s14, v7
	s_mov_b64 s[24:25], -1
	s_mov_b64 s[6:7], -1
	s_and_saveexec_b64 s[56:57], s[4:5]
	s_cbranch_execz .LBB6_215
; %bb.208:                              ;   in Loop: Header=BB6_207 Depth=2
	v_mov_b32_e32 v11, 0
	s_and_saveexec_b64 s[58:59], vcc
	s_cbranch_execz .LBB6_214
; %bb.209:                              ;   in Loop: Header=BB6_207 Depth=2
	s_lshl_b64 s[4:5], s[14:15], 2
	v_mov_b32_e32 v5, s5
	v_add_co_u32_e64 v4, s[4:5], s4, v60
	v_addc_co_u32_e64 v5, s[4:5], v61, v5, s[4:5]
	flat_load_dword v9, v[4:5]
	v_mov_b32_e32 v4, v58
	s_mov_b32 s17, 0
	s_mov_b64 s[60:61], 0
	v_mov_b32_e32 v5, v59
                                        ; implicit-def: $sgpr62_sgpr63
	s_waitcnt vmcnt(0) lgkmcnt(0)
	v_not_b32_e32 v10, v9
	s_branch .LBB6_211
.LBB6_210:                              ;   in Loop: Header=BB6_211 Depth=3
	s_or_b64 exec, exec, s[6:7]
	s_and_b64 s[4:5], exec, s[62:63]
	s_or_b64 s[60:61], s[4:5], s[60:61]
	s_andn2_b64 exec, exec, s[60:61]
	s_cbranch_execz .LBB6_213
.LBB6_211:                              ;   Parent Loop BB6_199 Depth=1
                                        ;     Parent Loop BB6_207 Depth=2
                                        ; =>    This Inner Loop Header: Depth=3
	flat_load_dword v6, v[4:5]
	v_mov_b32_e32 v11, s17
	s_or_b64 s[62:63], s[62:63], exec
	s_waitcnt vmcnt(0) lgkmcnt(0)
	v_and_b32_e32 v12, v6, v9
	v_and_b32_e32 v13, v6, v10
	v_cmp_ne_u32_e64 s[6:7], v12, v9
	v_cmp_ne_u32_e64 s[8:9], v8, v13
	v_cmp_gt_i32_e64 s[4:5], 0, v6
	s_or_b64 s[6:7], s[6:7], s[8:9]
	s_or_b64 s[4:5], s[6:7], s[4:5]
	s_and_saveexec_b64 s[6:7], s[4:5]
	s_cbranch_execz .LBB6_210
; %bb.212:                              ;   in Loop: Header=BB6_211 Depth=3
	v_add_co_u32_e64 v4, s[4:5], 4, v4
	s_add_i32 s17, s17, 1
	v_addc_co_u32_e64 v5, s[4:5], 0, v5, s[4:5]
	v_cmp_eq_u32_e64 s[4:5], s17, v56
	s_andn2_b64 s[8:9], s[62:63], exec
	s_and_b64 s[4:5], s[4:5], exec
	s_or_b64 s[62:63], s[8:9], s[4:5]
	v_mov_b32_e32 v11, v56
	s_branch .LBB6_210
.LBB6_213:                              ;   in Loop: Header=BB6_207 Depth=2
	s_or_b64 exec, exec, s[60:61]
.LBB6_214:                              ;   in Loop: Header=BB6_207 Depth=2
	s_or_b64 exec, exec, s[58:59]
	v_cmp_ne_u32_e64 s[4:5], v11, v56
	s_orn2_b64 s[6:7], s[4:5], exec
.LBB6_215:                              ;   in Loop: Header=BB6_207 Depth=2
	s_or_b64 exec, exec, s[56:57]
	v_mov_b32_e32 v4, s14
	s_and_saveexec_b64 s[8:9], s[6:7]
	s_cbranch_execz .LBB6_206
; %bb.216:                              ;   in Loop: Header=BB6_207 Depth=2
	s_add_i32 s14, s14, 1
	v_cmp_eq_u32_e64 s[4:5], s14, v46
	s_orn2_b64 s[24:25], s[4:5], exec
	v_mov_b32_e32 v4, v46
	s_branch .LBB6_206
.LBB6_217:                              ;   in Loop: Header=BB6_199 Depth=1
	s_or_b64 exec, exec, s[22:23]
	v_cmp_eq_u32_e32 vcc, v4, v46
	s_mov_b64 s[4:5], -1
	s_and_saveexec_b64 s[8:9], vcc
	s_cbranch_execz .LBB6_235
; %bb.218:                              ;   in Loop: Header=BB6_199 Depth=1
	v_ashrrev_i32_e32 v56, 31, v55
	v_lshlrev_b64 v[4:5], 2, v[55:56]
	v_add_u32_e32 v41, 1, v55
	v_add_co_u32_e32 v4, vcc, v19, v4
	v_addc_co_u32_e32 v5, vcc, v20, v5, vcc
	v_or_b32_e32 v0, 0x80000000, v0
	s_mov_b32 s14, 0
	s_mov_b64 s[24:25], 0
	flat_store_dword v[4:5], v8
	flat_store_dword v[2:3], v0
                                        ; implicit-def: $sgpr22_sgpr23
	s_branch .LBB6_220
.LBB6_219:                              ;   in Loop: Header=BB6_220 Depth=2
	s_or_b64 exec, exec, s[58:59]
	s_xor_b64 s[4:5], s[6:7], -1
	s_and_b64 s[6:7], exec, s[56:57]
	s_or_b64 s[24:25], s[6:7], s[24:25]
	s_andn2_b64 s[6:7], s[22:23], exec
	s_and_b64 s[4:5], s[4:5], exec
	s_or_b64 s[22:23], s[6:7], s[4:5]
	s_andn2_b64 exec, exec, s[24:25]
	s_cbranch_execz .LBB6_232
.LBB6_220:                              ;   Parent Loop BB6_199 Depth=1
                                        ; =>  This Loop Header: Depth=2
                                        ;       Child Loop BB6_224 Depth 3
	v_cmp_ne_u32_e32 vcc, s14, v7
	s_mov_b64 s[56:57], -1
	s_mov_b64 s[4:5], -1
	s_and_saveexec_b64 s[58:59], vcc
	s_cbranch_execz .LBB6_230
; %bb.221:                              ;   in Loop: Header=BB6_220 Depth=2
	flat_load_dword v0, v[53:54] offset:4
	v_mov_b32_e32 v4, 0
	v_mov_b32_e32 v5, 0
	s_mov_b64 s[4:5], 0
	s_waitcnt vmcnt(0) lgkmcnt(0)
	v_cmp_lt_i32_e32 vcc, 0, v0
	s_and_saveexec_b64 s[60:61], vcc
	s_cbranch_execz .LBB6_227
; %bb.222:                              ;   in Loop: Header=BB6_220 Depth=2
	s_lshl_b64 s[4:5], s[14:15], 2
	v_mov_b32_e32 v3, s5
	v_add_co_u32_e32 v2, vcc, s4, v60
	v_addc_co_u32_e32 v3, vcc, v61, v3, vcc
	flat_load_dword v9, v[2:3]
	v_mov_b32_e32 v2, v58
	s_mov_b64 s[62:63], 0
	v_mov_b32_e32 v3, v59
	s_mov_b64 s[88:89], 0
                                        ; implicit-def: $sgpr72_sgpr73
                                        ; implicit-def: $sgpr78_sgpr79
                                        ; implicit-def: $sgpr76_sgpr77
	s_waitcnt vmcnt(0) lgkmcnt(0)
	v_not_b32_e32 v10, v9
	s_branch .LBB6_224
.LBB6_223:                              ;   in Loop: Header=BB6_224 Depth=3
	s_or_b64 exec, exec, s[4:5]
	s_and_b64 s[4:5], exec, s[78:79]
	s_or_b64 s[62:63], s[4:5], s[62:63]
	s_andn2_b64 s[4:5], s[72:73], exec
	s_and_b64 s[6:7], s[76:77], exec
	s_or_b64 s[72:73], s[4:5], s[6:7]
	s_andn2_b64 exec, exec, s[62:63]
	s_cbranch_execz .LBB6_226
.LBB6_224:                              ;   Parent Loop BB6_199 Depth=1
                                        ;     Parent Loop BB6_220 Depth=2
                                        ; =>    This Inner Loop Header: Depth=3
	flat_load_dword v6, v[2:3]
	v_mov_b32_e32 v4, s88
	v_mov_b32_e32 v5, s89
	s_or_b64 s[76:77], s[76:77], exec
	s_or_b64 s[78:79], s[78:79], exec
	s_waitcnt vmcnt(0) lgkmcnt(0)
	v_and_b32_e32 v11, v6, v9
	v_and_b32_e32 v12, v6, v10
	v_cmp_ne_u32_e64 s[4:5], v11, v9
	v_cmp_ne_u32_e64 s[6:7], v8, v12
	v_cmp_gt_i32_e32 vcc, 0, v6
	s_or_b64 s[4:5], s[4:5], s[6:7]
	s_or_b64 s[6:7], s[4:5], vcc
	s_and_saveexec_b64 s[4:5], s[6:7]
	s_cbranch_execz .LBB6_223
; %bb.225:                              ;   in Loop: Header=BB6_224 Depth=3
	v_add_co_u32_e32 v2, vcc, 4, v2
	s_add_u32 s88, s88, 1
	v_addc_co_u32_e32 v3, vcc, 0, v3, vcc
	v_cmp_eq_u32_e32 vcc, s88, v0
	s_addc_u32 s89, s89, 0
	s_andn2_b64 s[6:7], s[78:79], exec
	s_and_b64 s[78:79], vcc, exec
	v_mov_b32_e32 v5, v1
	s_andn2_b64 s[76:77], s[76:77], exec
	s_or_b64 s[78:79], s[6:7], s[78:79]
	v_mov_b32_e32 v4, v0
	s_branch .LBB6_223
.LBB6_226:                              ;   in Loop: Header=BB6_220 Depth=2
	s_or_b64 exec, exec, s[62:63]
	s_and_b64 s[4:5], s[72:73], exec
.LBB6_227:                              ;   in Loop: Header=BB6_220 Depth=2
	s_or_b64 exec, exec, s[60:61]
	s_mov_b64 s[6:7], 0
	s_and_saveexec_b64 s[60:61], s[4:5]
	s_cbranch_execz .LBB6_229
; %bb.228:                              ;   in Loop: Header=BB6_220 Depth=2
	v_lshlrev_b64 v[2:3], 2, v[4:5]
	s_mov_b64 s[6:7], exec
	v_add_co_u32_e32 v2, vcc, v58, v2
	v_or_b32_e32 v0, 0x80000000, v6
	v_addc_co_u32_e32 v3, vcc, v59, v3, vcc
	flat_store_dword v[2:3], v0
.LBB6_229:                              ;   in Loop: Header=BB6_220 Depth=2
	s_or_b64 exec, exec, s[60:61]
	s_orn2_b64 s[4:5], s[6:7], exec
.LBB6_230:                              ;   in Loop: Header=BB6_220 Depth=2
	s_or_b64 exec, exec, s[58:59]
	s_mov_b64 s[6:7], -1
	s_and_saveexec_b64 s[58:59], s[4:5]
	s_cbranch_execz .LBB6_219
; %bb.231:                              ;   in Loop: Header=BB6_220 Depth=2
	s_add_i32 s14, s14, 1
	v_cmp_eq_u32_e32 vcc, s14, v46
	s_xor_b64 s[6:7], exec, -1
	s_orn2_b64 s[56:57], vcc, exec
	s_branch .LBB6_219
.LBB6_232:                              ;   in Loop: Header=BB6_199 Depth=1
	s_or_b64 exec, exec, s[24:25]
	s_mov_b64 s[4:5], 0
                                        ; implicit-def: $vgpr56
	s_and_saveexec_b64 s[6:7], s[22:23]
	s_xor_b64 s[6:7], exec, s[6:7]
	s_cbranch_execz .LBB6_234
; %bb.233:                              ;   in Loop: Header=BB6_199 Depth=1
	flat_load_dword v56, v[53:54] offset:4
	s_mov_b64 s[4:5], exec
.LBB6_234:                              ;   in Loop: Header=BB6_199 Depth=1
	s_or_b64 exec, exec, s[6:7]
	s_orn2_b64 s[4:5], s[4:5], exec
	v_mov_b32_e32 v55, v41
.LBB6_235:                              ;   in Loop: Header=BB6_199 Depth=1
	s_or_b64 exec, exec, s[8:9]
	s_orn2_b64 s[4:5], s[4:5], exec
.LBB6_236:                              ;   in Loop: Header=BB6_199 Depth=1
	s_or_b64 exec, exec, s[20:21]
	s_orn2_b64 s[4:5], s[4:5], exec
.LBB6_237:                              ;   in Loop: Header=BB6_199 Depth=1
	s_or_b64 exec, exec, s[18:19]
	s_mov_b64 s[6:7], -1
	s_mov_b64 s[8:9], -1
	s_and_saveexec_b64 s[18:19], s[4:5]
	s_cbranch_execz .LBB6_198
; %bb.238:                              ;   in Loop: Header=BB6_199 Depth=1
	s_add_i32 s16, s16, 1
	s_waitcnt vmcnt(0) lgkmcnt(0)
	v_cmp_ge_i32_e32 vcc, s16, v56
	s_xor_b64 s[8:9], exec, -1
	s_orn2_b64 s[6:7], vcc, exec
	s_branch .LBB6_198
.LBB6_239:
	s_or_b64 exec, exec, s[12:13]
	s_mov_b64 s[58:59], 0
	s_mov_b64 s[60:61], s[28:29]
	s_and_saveexec_b64 s[4:5], s[10:11]
	s_xor_b64 s[56:57], exec, s[4:5]
	s_cbranch_execz .LBB6_405
; %bb.240:
	v_mul_lo_u32 v0, v55, v46
	v_mov_b32_e32 v60, 0
	v_mov_b32_e32 v1, 0
	s_mov_b64 s[4:5], -1
	s_waitcnt vmcnt(0) lgkmcnt(0)
	v_sub_u32_e32 v6, v56, v0
	v_cmp_lt_i32_e32 vcc, 0, v6
	v_mov_b32_e32 v61, 0
	s_mov_b64 s[62:63], s[28:29]
	buffer_store_dword v41, off, s[0:3], s33 offset:140
	buffer_store_dword v1, off, s[0:3], s33 offset:156
	s_and_saveexec_b64 s[58:59], vcc
	s_cbranch_execz .LBB6_392
; %bb.241:
	flat_load_dword v0, v[44:45]
	s_movk_i32 s4, 0x2001
	v_mov_b32_e32 v60, 0
	v_mov_b32_e32 v61, 0
	s_mov_b64 s[60:61], 0
	s_waitcnt vmcnt(0) lgkmcnt(0)
	v_add_u32_e32 v0, v0, v6
	v_cmp_gt_i32_e32 vcc, s4, v0
	s_and_saveexec_b64 s[4:5], vcc
	s_xor_b64 s[4:5], exec, s[4:5]
	s_cbranch_execz .LBB6_243
; %bb.242:
	v_ashrrev_i32_e32 v1, 31, v0
	flat_store_dword v[44:45], v0
	v_lshlrev_b64 v[0:1], 2, v[0:1]
	v_mov_b32_e32 v7, 0
	v_add_co_u32_e32 v2, vcc, v44, v0
	v_addc_co_u32_e32 v3, vcc, v45, v1, vcc
	v_lshlrev_b64 v[0:1], 2, v[6:7]
	s_mov_b64 s[60:61], exec
	v_sub_co_u32_e32 v0, vcc, v2, v0
	v_subb_co_u32_e32 v1, vcc, v3, v1, vcc
	v_add_co_u32_e32 v60, vcc, 4, v0
	v_addc_co_u32_e32 v61, vcc, 0, v1, vcc
.LBB6_243:
	s_or_saveexec_b64 s[62:63], s[4:5]
	s_mov_b64 s[4:5], s[28:29]
	s_xor_b64 exec, exec, s[62:63]
	s_cbranch_execz .LBB6_391
; %bb.244:
	s_load_dwordx2 s[6:7], s[64:65], 0x50
	v_mbcnt_lo_u32_b32 v0, -1, 0
	v_mbcnt_hi_u32_b32 v30, -1, v0
	v_mov_b32_e32 v46, v6
	v_readfirstlane_b32 s4, v30
	v_mov_b32_e32 v5, 0
	v_mov_b32_e32 v6, 0
	v_cmp_eq_u32_e64 s[4:5], s4, v30
	s_and_saveexec_b64 s[8:9], s[4:5]
	s_cbranch_execz .LBB6_250
; %bb.245:
	v_mov_b32_e32 v0, 0
	s_waitcnt lgkmcnt(0)
	global_load_dwordx2 v[3:4], v0, s[6:7] offset:24 glc
	s_waitcnt vmcnt(0)
	buffer_wbinvl1_vol
	global_load_dwordx2 v[1:2], v0, s[6:7] offset:40
	global_load_dwordx2 v[5:6], v0, s[6:7]
	s_waitcnt vmcnt(1)
	v_and_b32_e32 v1, v1, v3
	v_and_b32_e32 v2, v2, v4
	v_mul_lo_u32 v2, v2, 24
	v_mul_hi_u32 v7, v1, 24
	v_mul_lo_u32 v1, v1, 24
	v_add_u32_e32 v2, v7, v2
	s_waitcnt vmcnt(0)
	v_add_co_u32_e32 v1, vcc, v5, v1
	v_addc_co_u32_e32 v2, vcc, v6, v2, vcc
	global_load_dwordx2 v[1:2], v[1:2], off glc
	s_waitcnt vmcnt(0)
	global_atomic_cmpswap_x2 v[5:6], v0, v[1:4], s[6:7] offset:24 glc
	s_waitcnt vmcnt(0)
	buffer_wbinvl1_vol
	v_cmp_ne_u64_e32 vcc, v[5:6], v[3:4]
	s_and_saveexec_b64 s[10:11], vcc
	s_cbranch_execz .LBB6_249
; %bb.246:
	s_mov_b64 s[12:13], 0
.LBB6_247:                              ; =>This Inner Loop Header: Depth=1
	s_sleep 1
	global_load_dwordx2 v[1:2], v0, s[6:7] offset:40
	global_load_dwordx2 v[7:8], v0, s[6:7]
	v_mov_b32_e32 v3, v5
	v_mov_b32_e32 v4, v6
	s_waitcnt vmcnt(1)
	v_and_b32_e32 v1, v1, v3
	s_waitcnt vmcnt(0)
	v_mad_u64_u32 v[5:6], s[14:15], v1, 24, v[7:8]
	v_and_b32_e32 v2, v2, v4
	v_mov_b32_e32 v1, v6
	v_mad_u64_u32 v[1:2], s[14:15], v2, 24, v[1:2]
	v_mov_b32_e32 v6, v1
	global_load_dwordx2 v[1:2], v[5:6], off glc
	s_waitcnt vmcnt(0)
	global_atomic_cmpswap_x2 v[5:6], v0, v[1:4], s[6:7] offset:24 glc
	s_waitcnt vmcnt(0)
	buffer_wbinvl1_vol
	v_cmp_eq_u64_e32 vcc, v[5:6], v[3:4]
	s_or_b64 s[12:13], vcc, s[12:13]
	s_andn2_b64 exec, exec, s[12:13]
	s_cbranch_execnz .LBB6_247
; %bb.248:
	s_or_b64 exec, exec, s[12:13]
.LBB6_249:
	s_or_b64 exec, exec, s[10:11]
.LBB6_250:
	s_or_b64 exec, exec, s[8:9]
	v_mov_b32_e32 v4, 0
	s_waitcnt lgkmcnt(0)
	global_load_dwordx2 v[7:8], v4, s[6:7] offset:40
	global_load_dwordx4 v[0:3], v4, s[6:7]
	v_readfirstlane_b32 s9, v6
	v_readfirstlane_b32 s8, v5
	s_mov_b64 s[10:11], exec
	s_waitcnt vmcnt(0)
	v_readfirstlane_b32 s12, v7
	v_readfirstlane_b32 s13, v8
	s_and_b64 s[12:13], s[12:13], s[8:9]
	s_mul_i32 s14, s13, 24
	s_mul_hi_u32 s15, s12, 24
	s_mul_i32 s16, s12, 24
	s_add_i32 s14, s15, s14
	v_mov_b32_e32 v5, s14
	v_add_co_u32_e32 v7, vcc, s16, v0
	v_addc_co_u32_e32 v8, vcc, v1, v5, vcc
	s_and_saveexec_b64 s[14:15], s[4:5]
	s_cbranch_execz .LBB6_252
; %bb.251:
	v_mov_b32_e32 v9, s10
	v_mov_b32_e32 v10, s11
	;; [unrolled: 1-line block ×4, first 2 shown]
	global_store_dwordx4 v[7:8], v[9:12], off offset:8
.LBB6_252:
	s_or_b64 exec, exec, s[14:15]
	s_lshl_b64 s[10:11], s[12:13], 12
	v_mov_b32_e32 v5, s11
	v_add_co_u32_e32 v2, vcc, s10, v2
	v_addc_co_u32_e32 v11, vcc, v3, v5, vcc
	v_lshlrev_b32_e32 v29, 6, v30
	s_mov_b32 s12, 0
	v_mov_b32_e32 v3, 33
	v_mov_b32_e32 v5, v4
	;; [unrolled: 1-line block ×3, first 2 shown]
	v_readfirstlane_b32 s10, v2
	v_readfirstlane_b32 s11, v11
	v_add_co_u32_e32 v9, vcc, v2, v29
	s_mov_b32 s13, s12
	s_mov_b32 s14, s12
	;; [unrolled: 1-line block ×3, first 2 shown]
	s_nop 0
	global_store_dwordx4 v29, v[3:6], s[10:11]
	v_mov_b32_e32 v2, s12
	v_addc_co_u32_e32 v10, vcc, 0, v11, vcc
	v_mov_b32_e32 v3, s13
	v_mov_b32_e32 v4, s14
	;; [unrolled: 1-line block ×3, first 2 shown]
	global_store_dwordx4 v29, v[2:5], s[10:11] offset:16
	global_store_dwordx4 v29, v[2:5], s[10:11] offset:32
	;; [unrolled: 1-line block ×3, first 2 shown]
	s_and_saveexec_b64 s[10:11], s[4:5]
	s_cbranch_execz .LBB6_260
; %bb.253:
	v_mov_b32_e32 v6, 0
	global_load_dwordx2 v[13:14], v6, s[6:7] offset:32 glc
	global_load_dwordx2 v[2:3], v6, s[6:7] offset:40
	v_mov_b32_e32 v11, s8
	v_mov_b32_e32 v12, s9
	s_waitcnt vmcnt(0)
	v_and_b32_e32 v2, s8, v2
	v_and_b32_e32 v3, s9, v3
	v_mul_lo_u32 v3, v3, 24
	v_mul_hi_u32 v4, v2, 24
	v_mul_lo_u32 v2, v2, 24
	v_add_u32_e32 v3, v4, v3
	v_add_co_u32_e32 v4, vcc, v0, v2
	v_addc_co_u32_e32 v5, vcc, v1, v3, vcc
	global_store_dwordx2 v[4:5], v[13:14], off
	s_waitcnt vmcnt(0)
	global_atomic_cmpswap_x2 v[2:3], v6, v[11:14], s[6:7] offset:32 glc
	s_waitcnt vmcnt(0)
	v_cmp_ne_u64_e32 vcc, v[2:3], v[13:14]
	s_and_saveexec_b64 s[12:13], vcc
	s_cbranch_execz .LBB6_256
; %bb.254:
	s_mov_b64 s[14:15], 0
.LBB6_255:                              ; =>This Inner Loop Header: Depth=1
	s_sleep 1
	global_store_dwordx2 v[4:5], v[2:3], off
	v_mov_b32_e32 v0, s8
	v_mov_b32_e32 v1, s9
	s_waitcnt vmcnt(0)
	global_atomic_cmpswap_x2 v[0:1], v6, v[0:3], s[6:7] offset:32 glc
	s_waitcnt vmcnt(0)
	v_cmp_eq_u64_e32 vcc, v[0:1], v[2:3]
	v_mov_b32_e32 v3, v1
	s_or_b64 s[14:15], vcc, s[14:15]
	v_mov_b32_e32 v2, v0
	s_andn2_b64 exec, exec, s[14:15]
	s_cbranch_execnz .LBB6_255
.LBB6_256:
	s_or_b64 exec, exec, s[12:13]
	v_mov_b32_e32 v3, 0
	global_load_dwordx2 v[0:1], v3, s[6:7] offset:16
	s_mov_b64 s[12:13], exec
	v_mbcnt_lo_u32_b32 v2, s12, 0
	v_mbcnt_hi_u32_b32 v2, s13, v2
	v_cmp_eq_u32_e32 vcc, 0, v2
	s_and_saveexec_b64 s[14:15], vcc
	s_cbranch_execz .LBB6_258
; %bb.257:
	s_bcnt1_i32_b64 s12, s[12:13]
	v_mov_b32_e32 v2, s12
	s_waitcnt vmcnt(0)
	global_atomic_add_x2 v[0:1], v[2:3], off offset:8
.LBB6_258:
	s_or_b64 exec, exec, s[14:15]
	s_waitcnt vmcnt(0)
	global_load_dwordx2 v[2:3], v[0:1], off offset:16
	s_waitcnt vmcnt(0)
	v_cmp_eq_u64_e32 vcc, 0, v[2:3]
	s_cbranch_vccnz .LBB6_260
; %bb.259:
	global_load_dword v0, v[0:1], off offset:24
	v_mov_b32_e32 v1, 0
	s_waitcnt vmcnt(0)
	v_readfirstlane_b32 s12, v0
	s_and_b32 m0, s12, 0xffffff
	global_store_dwordx2 v[2:3], v[0:1], off
	s_sendmsg sendmsg(MSG_INTERRUPT)
.LBB6_260:
	s_or_b64 exec, exec, s[10:11]
	s_branch .LBB6_264
.LBB6_261:                              ;   in Loop: Header=BB6_264 Depth=1
	s_or_b64 exec, exec, s[10:11]
	v_readfirstlane_b32 s10, v0
	s_cmp_eq_u32 s10, 0
	s_cbranch_scc1 .LBB6_263
; %bb.262:                              ;   in Loop: Header=BB6_264 Depth=1
	s_sleep 1
	s_cbranch_execnz .LBB6_264
	s_branch .LBB6_266
.LBB6_263:
	s_branch .LBB6_266
.LBB6_264:                              ; =>This Inner Loop Header: Depth=1
	v_mov_b32_e32 v0, 1
	s_and_saveexec_b64 s[10:11], s[4:5]
	s_cbranch_execz .LBB6_261
; %bb.265:                              ;   in Loop: Header=BB6_264 Depth=1
	global_load_dword v0, v[7:8], off offset:20 glc
	s_waitcnt vmcnt(0)
	buffer_wbinvl1_vol
	v_and_b32_e32 v0, 1, v0
	s_branch .LBB6_261
.LBB6_266:
	global_load_dwordx2 v[0:1], v[9:10], off
	s_and_saveexec_b64 s[10:11], s[4:5]
	s_cbranch_execz .LBB6_269
; %bb.267:
	v_mov_b32_e32 v8, 0
	global_load_dwordx2 v[2:3], v8, s[6:7] offset:40
	global_load_dwordx2 v[11:12], v8, s[6:7] offset:24 glc
	global_load_dwordx2 v[4:5], v8, s[6:7]
	s_waitcnt vmcnt(2)
	v_readfirstlane_b32 s12, v2
	v_readfirstlane_b32 s13, v3
	s_add_u32 s14, s12, 1
	s_addc_u32 s15, s13, 0
	s_add_u32 s4, s14, s8
	s_addc_u32 s5, s15, s9
	s_cmp_eq_u64 s[4:5], 0
	s_cselect_b32 s5, s15, s5
	s_cselect_b32 s4, s14, s4
	s_and_b64 s[8:9], s[4:5], s[12:13]
	s_mul_i32 s9, s9, 24
	s_mul_hi_u32 s12, s8, 24
	s_mul_i32 s8, s8, 24
	s_add_i32 s9, s12, s9
	v_mov_b32_e32 v2, s9
	s_waitcnt vmcnt(0)
	v_add_co_u32_e32 v6, vcc, s8, v4
	v_addc_co_u32_e32 v7, vcc, v5, v2, vcc
	v_mov_b32_e32 v9, s4
	global_store_dwordx2 v[6:7], v[11:12], off
	v_mov_b32_e32 v10, s5
	s_waitcnt vmcnt(0)
	global_atomic_cmpswap_x2 v[4:5], v8, v[9:12], s[6:7] offset:24 glc
	s_mov_b64 s[8:9], 0
	s_waitcnt vmcnt(0)
	v_cmp_ne_u64_e32 vcc, v[4:5], v[11:12]
	s_and_b64 exec, exec, vcc
	s_cbranch_execz .LBB6_269
.LBB6_268:                              ; =>This Inner Loop Header: Depth=1
	s_sleep 1
	global_store_dwordx2 v[6:7], v[4:5], off
	v_mov_b32_e32 v2, s4
	v_mov_b32_e32 v3, s5
	s_waitcnt vmcnt(0)
	global_atomic_cmpswap_x2 v[2:3], v8, v[2:5], s[6:7] offset:24 glc
	s_waitcnt vmcnt(0)
	v_cmp_eq_u64_e32 vcc, v[2:3], v[4:5]
	v_mov_b32_e32 v5, v3
	s_or_b64 s[8:9], vcc, s[8:9]
	v_mov_b32_e32 v4, v2
	s_andn2_b64 exec, exec, s[8:9]
	s_cbranch_execnz .LBB6_268
.LBB6_269:
	s_or_b64 exec, exec, s[10:11]
	s_getpc_b64 s[8:9]
	s_add_u32 s8, s8, .str.28@rel32@lo+4
	s_addc_u32 s9, s9, .str.28@rel32@hi+12
	s_cmp_lg_u64 s[8:9], 0
	buffer_store_dword v19, off, s[0:3], s33 offset:168 ; 4-byte Folded Spill
	s_nop 0
	buffer_store_dword v20, off, s[0:3], s33 offset:172 ; 4-byte Folded Spill
	s_cbranch_scc0 .LBB6_362
; %bb.270:
	s_waitcnt vmcnt(2)
	v_and_b32_e32 v6, -3, v0
	v_mov_b32_e32 v7, v1
	s_mov_b64 s[10:11], 35
	v_mov_b32_e32 v26, 0
	v_mov_b32_e32 v4, 2
	v_mov_b32_e32 v5, 1
	s_branch .LBB6_272
.LBB6_271:                              ;   in Loop: Header=BB6_272 Depth=1
	s_or_b64 exec, exec, s[16:17]
	s_sub_u32 s10, s10, s12
	s_subb_u32 s11, s11, s13
	s_add_u32 s8, s8, s12
	s_addc_u32 s9, s9, s13
	s_cmp_lg_u64 s[10:11], 0
	s_cbranch_scc0 .LBB6_361
.LBB6_272:                              ; =>This Loop Header: Depth=1
                                        ;     Child Loop BB6_275 Depth 2
                                        ;     Child Loop BB6_284 Depth 2
	;; [unrolled: 1-line block ×11, first 2 shown]
	v_cmp_lt_u64_e64 s[4:5], s[10:11], 56
	v_cmp_gt_u64_e64 s[14:15], s[10:11], 7
	s_and_b64 s[4:5], s[4:5], exec
	s_cselect_b32 s13, s11, 0
	s_cselect_b32 s12, s10, 56
	s_add_u32 s4, s8, 8
	s_addc_u32 s5, s9, 0
	s_and_b64 vcc, exec, s[14:15]
	s_cbranch_vccnz .LBB6_276
; %bb.273:                              ;   in Loop: Header=BB6_272 Depth=1
	s_cmp_eq_u64 s[10:11], 0
	s_cbranch_scc1 .LBB6_277
; %bb.274:                              ;   in Loop: Header=BB6_272 Depth=1
	s_waitcnt vmcnt(0)
	v_mov_b32_e32 v8, 0
	s_lshl_b64 s[4:5], s[12:13], 3
	s_mov_b64 s[14:15], 0
	v_mov_b32_e32 v9, 0
	s_mov_b64 s[16:17], s[8:9]
.LBB6_275:                              ;   Parent Loop BB6_272 Depth=1
                                        ; =>  This Inner Loop Header: Depth=2
	global_load_ubyte v2, v26, s[16:17]
	s_waitcnt vmcnt(0)
	v_and_b32_e32 v25, 0xffff, v2
	v_lshlrev_b64 v[2:3], s14, v[25:26]
	s_add_u32 s14, s14, 8
	s_addc_u32 s15, s15, 0
	s_add_u32 s16, s16, 1
	s_addc_u32 s17, s17, 0
	v_or_b32_e32 v8, v2, v8
	s_cmp_lg_u32 s4, s14
	v_or_b32_e32 v9, v3, v9
	s_cbranch_scc1 .LBB6_275
	s_branch .LBB6_278
.LBB6_276:                              ;   in Loop: Header=BB6_272 Depth=1
	s_mov_b64 s[14:15], -1
	s_branch .LBB6_279
.LBB6_277:                              ;   in Loop: Header=BB6_272 Depth=1
	s_waitcnt vmcnt(0)
	v_mov_b32_e32 v8, 0
	v_mov_b32_e32 v9, 0
.LBB6_278:                              ;   in Loop: Header=BB6_272 Depth=1
	s_mov_b64 s[14:15], 0
	s_mov_b64 s[4:5], s[8:9]
.LBB6_279:                              ;   in Loop: Header=BB6_272 Depth=1
	s_andn2_b64 vcc, exec, s[14:15]
	s_mov_b32 s18, 0
	s_cbranch_vccnz .LBB6_281
; %bb.280:                              ;   in Loop: Header=BB6_272 Depth=1
	global_load_dwordx2 v[8:9], v26, s[8:9]
	s_add_i32 s18, s12, -8
.LBB6_281:                              ;   in Loop: Header=BB6_272 Depth=1
	s_add_u32 s14, s4, 8
	s_addc_u32 s15, s5, 0
	s_cmp_gt_u32 s18, 7
	s_cbranch_scc1 .LBB6_285
; %bb.282:                              ;   in Loop: Header=BB6_272 Depth=1
	s_cmp_eq_u32 s18, 0
	s_cbranch_scc1 .LBB6_286
; %bb.283:                              ;   in Loop: Header=BB6_272 Depth=1
	v_mov_b32_e32 v10, 0
	s_mov_b64 s[14:15], 0
	v_mov_b32_e32 v11, 0
	s_mov_b64 s[16:17], 0
.LBB6_284:                              ;   Parent Loop BB6_272 Depth=1
                                        ; =>  This Inner Loop Header: Depth=2
	s_add_u32 s20, s4, s16
	s_addc_u32 s21, s5, s17
	global_load_ubyte v2, v26, s[20:21]
	s_add_u32 s16, s16, 1
	s_addc_u32 s17, s17, 0
	s_waitcnt vmcnt(0)
	v_and_b32_e32 v25, 0xffff, v2
	v_lshlrev_b64 v[2:3], s14, v[25:26]
	s_add_u32 s14, s14, 8
	s_addc_u32 s15, s15, 0
	v_or_b32_e32 v10, v2, v10
	s_cmp_lg_u32 s18, s16
	v_or_b32_e32 v11, v3, v11
	s_cbranch_scc1 .LBB6_284
	s_branch .LBB6_287
.LBB6_285:                              ;   in Loop: Header=BB6_272 Depth=1
	s_mov_b64 s[16:17], -1
                                        ; implicit-def: $vgpr10_vgpr11
	s_branch .LBB6_288
.LBB6_286:                              ;   in Loop: Header=BB6_272 Depth=1
	v_mov_b32_e32 v10, 0
	v_mov_b32_e32 v11, 0
.LBB6_287:                              ;   in Loop: Header=BB6_272 Depth=1
	s_mov_b64 s[16:17], 0
	s_mov_b64 s[14:15], s[4:5]
.LBB6_288:                              ;   in Loop: Header=BB6_272 Depth=1
	s_andn2_b64 vcc, exec, s[16:17]
	s_mov_b32 s19, 0
	s_cbranch_vccnz .LBB6_290
; %bb.289:                              ;   in Loop: Header=BB6_272 Depth=1
	global_load_dwordx2 v[10:11], v26, s[4:5]
	s_add_i32 s19, s18, -8
.LBB6_290:                              ;   in Loop: Header=BB6_272 Depth=1
	s_add_u32 s4, s14, 8
	s_addc_u32 s5, s15, 0
	s_cmp_gt_u32 s19, 7
	s_cbranch_scc1 .LBB6_294
; %bb.291:                              ;   in Loop: Header=BB6_272 Depth=1
	s_cmp_eq_u32 s19, 0
	s_cbranch_scc1 .LBB6_295
; %bb.292:                              ;   in Loop: Header=BB6_272 Depth=1
	v_mov_b32_e32 v12, 0
	s_mov_b64 s[4:5], 0
	v_mov_b32_e32 v13, 0
	s_mov_b64 s[16:17], 0
.LBB6_293:                              ;   Parent Loop BB6_272 Depth=1
                                        ; =>  This Inner Loop Header: Depth=2
	s_add_u32 s20, s14, s16
	s_addc_u32 s21, s15, s17
	global_load_ubyte v2, v26, s[20:21]
	s_add_u32 s16, s16, 1
	s_addc_u32 s17, s17, 0
	s_waitcnt vmcnt(0)
	v_and_b32_e32 v25, 0xffff, v2
	v_lshlrev_b64 v[2:3], s4, v[25:26]
	s_add_u32 s4, s4, 8
	s_addc_u32 s5, s5, 0
	v_or_b32_e32 v12, v2, v12
	s_cmp_lg_u32 s19, s16
	v_or_b32_e32 v13, v3, v13
	s_cbranch_scc1 .LBB6_293
	s_branch .LBB6_296
.LBB6_294:                              ;   in Loop: Header=BB6_272 Depth=1
	s_mov_b64 s[16:17], -1
	s_branch .LBB6_297
.LBB6_295:                              ;   in Loop: Header=BB6_272 Depth=1
	v_mov_b32_e32 v12, 0
	v_mov_b32_e32 v13, 0
.LBB6_296:                              ;   in Loop: Header=BB6_272 Depth=1
	s_mov_b64 s[16:17], 0
	s_mov_b64 s[4:5], s[14:15]
.LBB6_297:                              ;   in Loop: Header=BB6_272 Depth=1
	s_andn2_b64 vcc, exec, s[16:17]
	s_mov_b32 s18, 0
	s_cbranch_vccnz .LBB6_299
; %bb.298:                              ;   in Loop: Header=BB6_272 Depth=1
	global_load_dwordx2 v[12:13], v26, s[14:15]
	s_add_i32 s18, s19, -8
.LBB6_299:                              ;   in Loop: Header=BB6_272 Depth=1
	s_add_u32 s14, s4, 8
	s_addc_u32 s15, s5, 0
	s_cmp_gt_u32 s18, 7
	s_cbranch_scc1 .LBB6_303
; %bb.300:                              ;   in Loop: Header=BB6_272 Depth=1
	s_cmp_eq_u32 s18, 0
	s_cbranch_scc1 .LBB6_304
; %bb.301:                              ;   in Loop: Header=BB6_272 Depth=1
	v_mov_b32_e32 v14, 0
	s_mov_b64 s[14:15], 0
	v_mov_b32_e32 v15, 0
	s_mov_b64 s[16:17], 0
.LBB6_302:                              ;   Parent Loop BB6_272 Depth=1
                                        ; =>  This Inner Loop Header: Depth=2
	s_add_u32 s20, s4, s16
	s_addc_u32 s21, s5, s17
	global_load_ubyte v2, v26, s[20:21]
	s_add_u32 s16, s16, 1
	s_addc_u32 s17, s17, 0
	s_waitcnt vmcnt(0)
	v_and_b32_e32 v25, 0xffff, v2
	v_lshlrev_b64 v[2:3], s14, v[25:26]
	s_add_u32 s14, s14, 8
	s_addc_u32 s15, s15, 0
	v_or_b32_e32 v14, v2, v14
	s_cmp_lg_u32 s18, s16
	v_or_b32_e32 v15, v3, v15
	s_cbranch_scc1 .LBB6_302
	s_branch .LBB6_305
.LBB6_303:                              ;   in Loop: Header=BB6_272 Depth=1
	s_mov_b64 s[16:17], -1
                                        ; implicit-def: $vgpr14_vgpr15
	s_branch .LBB6_306
.LBB6_304:                              ;   in Loop: Header=BB6_272 Depth=1
	v_mov_b32_e32 v14, 0
	v_mov_b32_e32 v15, 0
.LBB6_305:                              ;   in Loop: Header=BB6_272 Depth=1
	s_mov_b64 s[16:17], 0
	s_mov_b64 s[14:15], s[4:5]
.LBB6_306:                              ;   in Loop: Header=BB6_272 Depth=1
	s_andn2_b64 vcc, exec, s[16:17]
	s_mov_b32 s19, 0
	s_cbranch_vccnz .LBB6_308
; %bb.307:                              ;   in Loop: Header=BB6_272 Depth=1
	global_load_dwordx2 v[14:15], v26, s[4:5]
	s_add_i32 s19, s18, -8
.LBB6_308:                              ;   in Loop: Header=BB6_272 Depth=1
	s_add_u32 s4, s14, 8
	s_addc_u32 s5, s15, 0
	s_cmp_gt_u32 s19, 7
	s_cbranch_scc1 .LBB6_312
; %bb.309:                              ;   in Loop: Header=BB6_272 Depth=1
	s_cmp_eq_u32 s19, 0
	s_cbranch_scc1 .LBB6_313
; %bb.310:                              ;   in Loop: Header=BB6_272 Depth=1
	v_mov_b32_e32 v16, 0
	s_mov_b64 s[4:5], 0
	v_mov_b32_e32 v17, 0
	s_mov_b64 s[16:17], 0
.LBB6_311:                              ;   Parent Loop BB6_272 Depth=1
                                        ; =>  This Inner Loop Header: Depth=2
	s_add_u32 s20, s14, s16
	s_addc_u32 s21, s15, s17
	global_load_ubyte v2, v26, s[20:21]
	s_add_u32 s16, s16, 1
	s_addc_u32 s17, s17, 0
	s_waitcnt vmcnt(0)
	v_and_b32_e32 v25, 0xffff, v2
	v_lshlrev_b64 v[2:3], s4, v[25:26]
	s_add_u32 s4, s4, 8
	s_addc_u32 s5, s5, 0
	v_or_b32_e32 v16, v2, v16
	s_cmp_lg_u32 s19, s16
	v_or_b32_e32 v17, v3, v17
	s_cbranch_scc1 .LBB6_311
	s_branch .LBB6_314
.LBB6_312:                              ;   in Loop: Header=BB6_272 Depth=1
	s_mov_b64 s[16:17], -1
	s_branch .LBB6_315
.LBB6_313:                              ;   in Loop: Header=BB6_272 Depth=1
	v_mov_b32_e32 v16, 0
	v_mov_b32_e32 v17, 0
.LBB6_314:                              ;   in Loop: Header=BB6_272 Depth=1
	s_mov_b64 s[16:17], 0
	s_mov_b64 s[4:5], s[14:15]
.LBB6_315:                              ;   in Loop: Header=BB6_272 Depth=1
	s_andn2_b64 vcc, exec, s[16:17]
	s_mov_b32 s18, 0
	s_cbranch_vccnz .LBB6_317
; %bb.316:                              ;   in Loop: Header=BB6_272 Depth=1
	global_load_dwordx2 v[16:17], v26, s[14:15]
	s_add_i32 s18, s19, -8
.LBB6_317:                              ;   in Loop: Header=BB6_272 Depth=1
	s_add_u32 s14, s4, 8
	s_addc_u32 s15, s5, 0
	s_cmp_gt_u32 s18, 7
	s_cbranch_scc1 .LBB6_321
; %bb.318:                              ;   in Loop: Header=BB6_272 Depth=1
	s_cmp_eq_u32 s18, 0
	s_cbranch_scc1 .LBB6_322
; %bb.319:                              ;   in Loop: Header=BB6_272 Depth=1
	v_mov_b32_e32 v18, 0
	s_mov_b64 s[14:15], 0
	v_mov_b32_e32 v19, 0
	s_mov_b64 s[16:17], 0
.LBB6_320:                              ;   Parent Loop BB6_272 Depth=1
                                        ; =>  This Inner Loop Header: Depth=2
	s_add_u32 s20, s4, s16
	s_addc_u32 s21, s5, s17
	global_load_ubyte v2, v26, s[20:21]
	s_add_u32 s16, s16, 1
	s_addc_u32 s17, s17, 0
	s_waitcnt vmcnt(0)
	v_and_b32_e32 v25, 0xffff, v2
	v_lshlrev_b64 v[2:3], s14, v[25:26]
	s_add_u32 s14, s14, 8
	s_addc_u32 s15, s15, 0
	v_or_b32_e32 v18, v2, v18
	s_cmp_lg_u32 s18, s16
	v_or_b32_e32 v19, v3, v19
	s_cbranch_scc1 .LBB6_320
	s_branch .LBB6_323
.LBB6_321:                              ;   in Loop: Header=BB6_272 Depth=1
	s_mov_b64 s[16:17], -1
                                        ; implicit-def: $vgpr18_vgpr19
	s_branch .LBB6_324
.LBB6_322:                              ;   in Loop: Header=BB6_272 Depth=1
	v_mov_b32_e32 v18, 0
	v_mov_b32_e32 v19, 0
.LBB6_323:                              ;   in Loop: Header=BB6_272 Depth=1
	s_mov_b64 s[16:17], 0
	s_mov_b64 s[14:15], s[4:5]
.LBB6_324:                              ;   in Loop: Header=BB6_272 Depth=1
	s_andn2_b64 vcc, exec, s[16:17]
	s_mov_b32 s19, 0
	s_cbranch_vccnz .LBB6_326
; %bb.325:                              ;   in Loop: Header=BB6_272 Depth=1
	global_load_dwordx2 v[18:19], v26, s[4:5]
	s_add_i32 s19, s18, -8
.LBB6_326:                              ;   in Loop: Header=BB6_272 Depth=1
	s_cmp_gt_u32 s19, 7
	s_cbranch_scc1 .LBB6_330
; %bb.327:                              ;   in Loop: Header=BB6_272 Depth=1
	s_cmp_eq_u32 s19, 0
	s_cbranch_scc1 .LBB6_331
; %bb.328:                              ;   in Loop: Header=BB6_272 Depth=1
	v_mov_b32_e32 v20, 0
	s_mov_b64 s[4:5], 0
	v_mov_b32_e32 v21, 0
	s_mov_b64 s[16:17], s[14:15]
.LBB6_329:                              ;   Parent Loop BB6_272 Depth=1
                                        ; =>  This Inner Loop Header: Depth=2
	global_load_ubyte v2, v26, s[16:17]
	s_add_i32 s19, s19, -1
	s_waitcnt vmcnt(0)
	v_and_b32_e32 v25, 0xffff, v2
	v_lshlrev_b64 v[2:3], s4, v[25:26]
	s_add_u32 s4, s4, 8
	s_addc_u32 s5, s5, 0
	s_add_u32 s16, s16, 1
	s_addc_u32 s17, s17, 0
	v_or_b32_e32 v20, v2, v20
	s_cmp_lg_u32 s19, 0
	v_or_b32_e32 v21, v3, v21
	s_cbranch_scc1 .LBB6_329
	s_branch .LBB6_332
.LBB6_330:                              ;   in Loop: Header=BB6_272 Depth=1
	s_mov_b64 s[4:5], -1
	s_branch .LBB6_333
.LBB6_331:                              ;   in Loop: Header=BB6_272 Depth=1
	v_mov_b32_e32 v20, 0
	v_mov_b32_e32 v21, 0
.LBB6_332:                              ;   in Loop: Header=BB6_272 Depth=1
	s_mov_b64 s[4:5], 0
.LBB6_333:                              ;   in Loop: Header=BB6_272 Depth=1
	s_andn2_b64 vcc, exec, s[4:5]
	s_cbranch_vccnz .LBB6_335
; %bb.334:                              ;   in Loop: Header=BB6_272 Depth=1
	global_load_dwordx2 v[20:21], v26, s[14:15]
.LBB6_335:                              ;   in Loop: Header=BB6_272 Depth=1
	v_readfirstlane_b32 s4, v30
	v_mov_b32_e32 v2, 0
	v_mov_b32_e32 v3, 0
	v_cmp_eq_u32_e64 s[4:5], s4, v30
	s_and_saveexec_b64 s[14:15], s[4:5]
	s_cbranch_execz .LBB6_341
; %bb.336:                              ;   in Loop: Header=BB6_272 Depth=1
	global_load_dwordx2 v[24:25], v26, s[6:7] offset:24 glc
	s_waitcnt vmcnt(0)
	buffer_wbinvl1_vol
	global_load_dwordx2 v[2:3], v26, s[6:7] offset:40
	global_load_dwordx2 v[22:23], v26, s[6:7]
	s_waitcnt vmcnt(1)
	v_and_b32_e32 v2, v2, v24
	v_and_b32_e32 v3, v3, v25
	v_mul_lo_u32 v3, v3, 24
	v_mul_hi_u32 v27, v2, 24
	v_mul_lo_u32 v2, v2, 24
	v_add_u32_e32 v3, v27, v3
	s_waitcnt vmcnt(0)
	v_add_co_u32_e32 v2, vcc, v22, v2
	v_addc_co_u32_e32 v3, vcc, v23, v3, vcc
	global_load_dwordx2 v[22:23], v[2:3], off glc
	s_waitcnt vmcnt(0)
	global_atomic_cmpswap_x2 v[2:3], v26, v[22:25], s[6:7] offset:24 glc
	s_waitcnt vmcnt(0)
	buffer_wbinvl1_vol
	v_cmp_ne_u64_e32 vcc, v[2:3], v[24:25]
	s_and_saveexec_b64 s[16:17], vcc
	s_cbranch_execz .LBB6_340
; %bb.337:                              ;   in Loop: Header=BB6_272 Depth=1
	s_mov_b64 s[18:19], 0
.LBB6_338:                              ;   Parent Loop BB6_272 Depth=1
                                        ; =>  This Inner Loop Header: Depth=2
	s_sleep 1
	global_load_dwordx2 v[22:23], v26, s[6:7] offset:40
	global_load_dwordx2 v[27:28], v26, s[6:7]
	v_mov_b32_e32 v25, v3
	v_mov_b32_e32 v24, v2
	s_waitcnt vmcnt(1)
	v_and_b32_e32 v2, v22, v24
	s_waitcnt vmcnt(0)
	v_mad_u64_u32 v[2:3], s[20:21], v2, 24, v[27:28]
	v_and_b32_e32 v22, v23, v25
	v_mad_u64_u32 v[22:23], s[20:21], v22, 24, v[3:4]
	v_mov_b32_e32 v3, v22
	global_load_dwordx2 v[22:23], v[2:3], off glc
	s_waitcnt vmcnt(0)
	global_atomic_cmpswap_x2 v[2:3], v26, v[22:25], s[6:7] offset:24 glc
	s_waitcnt vmcnt(0)
	buffer_wbinvl1_vol
	v_cmp_eq_u64_e32 vcc, v[2:3], v[24:25]
	s_or_b64 s[18:19], vcc, s[18:19]
	s_andn2_b64 exec, exec, s[18:19]
	s_cbranch_execnz .LBB6_338
; %bb.339:                              ;   in Loop: Header=BB6_272 Depth=1
	s_or_b64 exec, exec, s[18:19]
.LBB6_340:                              ;   in Loop: Header=BB6_272 Depth=1
	s_or_b64 exec, exec, s[16:17]
.LBB6_341:                              ;   in Loop: Header=BB6_272 Depth=1
	s_or_b64 exec, exec, s[14:15]
	global_load_dwordx2 v[27:28], v26, s[6:7] offset:40
	global_load_dwordx4 v[22:25], v26, s[6:7]
	v_readfirstlane_b32 s15, v3
	v_readfirstlane_b32 s14, v2
	s_mov_b64 s[16:17], exec
	s_waitcnt vmcnt(1)
	v_readfirstlane_b32 s18, v27
	v_readfirstlane_b32 s19, v28
	s_and_b64 s[18:19], s[18:19], s[14:15]
	s_mul_i32 s20, s19, 24
	s_mul_hi_u32 s21, s18, 24
	s_mul_i32 s22, s18, 24
	s_add_i32 s20, s21, s20
	v_mov_b32_e32 v2, s20
	s_waitcnt vmcnt(0)
	v_add_co_u32_e32 v27, vcc, s22, v22
	v_addc_co_u32_e32 v28, vcc, v23, v2, vcc
	s_and_saveexec_b64 s[20:21], s[4:5]
	s_cbranch_execz .LBB6_343
; %bb.342:                              ;   in Loop: Header=BB6_272 Depth=1
	v_mov_b32_e32 v2, s16
	v_mov_b32_e32 v3, s17
	global_store_dwordx4 v[27:28], v[2:5], off offset:8
.LBB6_343:                              ;   in Loop: Header=BB6_272 Depth=1
	s_or_b64 exec, exec, s[20:21]
	s_lshl_b64 s[16:17], s[18:19], 12
	v_cmp_gt_u64_e64 s[18:19], s[10:11], 56
	v_mov_b32_e32 v2, s17
	v_add_co_u32_e32 v24, vcc, s16, v24
	s_and_b64 s[16:17], s[18:19], exec
	s_cselect_b32 s16, 0, 2
	s_lshl_b32 s17, s12, 2
	v_addc_co_u32_e32 v31, vcc, v25, v2, vcc
	s_add_i32 s17, s17, 28
	v_and_b32_e32 v2, 0xffffff1f, v6
	s_and_b32 s17, s17, 0x1e0
	v_or_b32_e32 v2, s16, v2
	v_or_b32_e32 v6, s17, v2
	v_readfirstlane_b32 s16, v24
	v_readfirstlane_b32 s17, v31
	s_nop 4
	global_store_dwordx4 v29, v[6:9], s[16:17]
	global_store_dwordx4 v29, v[10:13], s[16:17] offset:16
	global_store_dwordx4 v29, v[14:17], s[16:17] offset:32
	;; [unrolled: 1-line block ×3, first 2 shown]
	s_and_saveexec_b64 s[16:17], s[4:5]
	s_cbranch_execz .LBB6_351
; %bb.344:                              ;   in Loop: Header=BB6_272 Depth=1
	global_load_dwordx2 v[10:11], v26, s[6:7] offset:32 glc
	global_load_dwordx2 v[2:3], v26, s[6:7] offset:40
	v_mov_b32_e32 v8, s14
	v_mov_b32_e32 v9, s15
	s_waitcnt vmcnt(0)
	v_readfirstlane_b32 s18, v2
	v_readfirstlane_b32 s19, v3
	s_and_b64 s[18:19], s[18:19], s[14:15]
	s_mul_i32 s19, s19, 24
	s_mul_hi_u32 s20, s18, 24
	s_mul_i32 s18, s18, 24
	s_add_i32 s19, s20, s19
	v_mov_b32_e32 v3, s19
	v_add_co_u32_e32 v2, vcc, s18, v22
	v_addc_co_u32_e32 v3, vcc, v23, v3, vcc
	global_store_dwordx2 v[2:3], v[10:11], off
	s_waitcnt vmcnt(0)
	global_atomic_cmpswap_x2 v[8:9], v26, v[8:11], s[6:7] offset:32 glc
	s_waitcnt vmcnt(0)
	v_cmp_ne_u64_e32 vcc, v[8:9], v[10:11]
	s_and_saveexec_b64 s[18:19], vcc
	s_cbranch_execz .LBB6_347
; %bb.345:                              ;   in Loop: Header=BB6_272 Depth=1
	s_mov_b64 s[20:21], 0
.LBB6_346:                              ;   Parent Loop BB6_272 Depth=1
                                        ; =>  This Inner Loop Header: Depth=2
	s_sleep 1
	global_store_dwordx2 v[2:3], v[8:9], off
	v_mov_b32_e32 v6, s14
	v_mov_b32_e32 v7, s15
	s_waitcnt vmcnt(0)
	global_atomic_cmpswap_x2 v[6:7], v26, v[6:9], s[6:7] offset:32 glc
	s_waitcnt vmcnt(0)
	v_cmp_eq_u64_e32 vcc, v[6:7], v[8:9]
	v_mov_b32_e32 v9, v7
	s_or_b64 s[20:21], vcc, s[20:21]
	v_mov_b32_e32 v8, v6
	s_andn2_b64 exec, exec, s[20:21]
	s_cbranch_execnz .LBB6_346
.LBB6_347:                              ;   in Loop: Header=BB6_272 Depth=1
	s_or_b64 exec, exec, s[18:19]
	global_load_dwordx2 v[2:3], v26, s[6:7] offset:16
	s_mov_b64 s[20:21], exec
	v_mbcnt_lo_u32_b32 v6, s20, 0
	v_mbcnt_hi_u32_b32 v6, s21, v6
	v_cmp_eq_u32_e32 vcc, 0, v6
	s_and_saveexec_b64 s[18:19], vcc
	s_cbranch_execz .LBB6_349
; %bb.348:                              ;   in Loop: Header=BB6_272 Depth=1
	s_bcnt1_i32_b64 s20, s[20:21]
	v_mov_b32_e32 v25, s20
	s_waitcnt vmcnt(0)
	global_atomic_add_x2 v[2:3], v[25:26], off offset:8
.LBB6_349:                              ;   in Loop: Header=BB6_272 Depth=1
	s_or_b64 exec, exec, s[18:19]
	s_waitcnt vmcnt(0)
	global_load_dwordx2 v[6:7], v[2:3], off offset:16
	s_waitcnt vmcnt(0)
	v_cmp_eq_u64_e32 vcc, 0, v[6:7]
	s_cbranch_vccnz .LBB6_351
; %bb.350:                              ;   in Loop: Header=BB6_272 Depth=1
	global_load_dword v25, v[2:3], off offset:24
	s_waitcnt vmcnt(0)
	v_readfirstlane_b32 s18, v25
	s_and_b32 m0, s18, 0xffffff
	global_store_dwordx2 v[6:7], v[25:26], off
	s_sendmsg sendmsg(MSG_INTERRUPT)
.LBB6_351:                              ;   in Loop: Header=BB6_272 Depth=1
	s_or_b64 exec, exec, s[16:17]
	v_add_co_u32_e32 v2, vcc, v24, v29
	v_addc_co_u32_e32 v3, vcc, 0, v31, vcc
	s_branch .LBB6_355
.LBB6_352:                              ;   in Loop: Header=BB6_355 Depth=2
	s_or_b64 exec, exec, s[16:17]
	v_readfirstlane_b32 s16, v6
	s_cmp_eq_u32 s16, 0
	s_cbranch_scc1 .LBB6_354
; %bb.353:                              ;   in Loop: Header=BB6_355 Depth=2
	s_sleep 1
	s_cbranch_execnz .LBB6_355
	s_branch .LBB6_357
.LBB6_354:                              ;   in Loop: Header=BB6_272 Depth=1
	s_branch .LBB6_357
.LBB6_355:                              ;   Parent Loop BB6_272 Depth=1
                                        ; =>  This Inner Loop Header: Depth=2
	v_mov_b32_e32 v6, 1
	s_and_saveexec_b64 s[16:17], s[4:5]
	s_cbranch_execz .LBB6_352
; %bb.356:                              ;   in Loop: Header=BB6_355 Depth=2
	global_load_dword v6, v[27:28], off offset:20 glc
	s_waitcnt vmcnt(0)
	buffer_wbinvl1_vol
	v_and_b32_e32 v6, 1, v6
	s_branch .LBB6_352
.LBB6_357:                              ;   in Loop: Header=BB6_272 Depth=1
	global_load_dwordx4 v[6:9], v[2:3], off
	s_and_saveexec_b64 s[16:17], s[4:5]
	s_cbranch_execz .LBB6_271
; %bb.358:                              ;   in Loop: Header=BB6_272 Depth=1
	global_load_dwordx2 v[2:3], v26, s[6:7] offset:40
	global_load_dwordx2 v[12:13], v26, s[6:7] offset:24 glc
	global_load_dwordx2 v[8:9], v26, s[6:7]
	s_waitcnt vmcnt(2)
	v_readfirstlane_b32 s18, v2
	v_readfirstlane_b32 s19, v3
	s_add_u32 s20, s18, 1
	s_addc_u32 s21, s19, 0
	s_add_u32 s4, s20, s14
	s_addc_u32 s5, s21, s15
	s_cmp_eq_u64 s[4:5], 0
	s_cselect_b32 s5, s21, s5
	s_cselect_b32 s4, s20, s4
	s_and_b64 s[14:15], s[4:5], s[18:19]
	s_mul_i32 s15, s15, 24
	s_mul_hi_u32 s18, s14, 24
	s_mul_i32 s14, s14, 24
	s_add_i32 s15, s18, s15
	v_mov_b32_e32 v3, s15
	s_waitcnt vmcnt(0)
	v_add_co_u32_e32 v2, vcc, s14, v8
	v_addc_co_u32_e32 v3, vcc, v9, v3, vcc
	v_mov_b32_e32 v10, s4
	global_store_dwordx2 v[2:3], v[12:13], off
	v_mov_b32_e32 v11, s5
	s_waitcnt vmcnt(0)
	global_atomic_cmpswap_x2 v[10:11], v26, v[10:13], s[6:7] offset:24 glc
	s_waitcnt vmcnt(0)
	v_cmp_ne_u64_e32 vcc, v[10:11], v[12:13]
	s_and_b64 exec, exec, vcc
	s_cbranch_execz .LBB6_271
; %bb.359:                              ;   in Loop: Header=BB6_272 Depth=1
	s_mov_b64 s[14:15], 0
.LBB6_360:                              ;   Parent Loop BB6_272 Depth=1
                                        ; =>  This Inner Loop Header: Depth=2
	s_sleep 1
	global_store_dwordx2 v[2:3], v[10:11], off
	v_mov_b32_e32 v8, s4
	v_mov_b32_e32 v9, s5
	s_waitcnt vmcnt(0)
	global_atomic_cmpswap_x2 v[8:9], v26, v[8:11], s[6:7] offset:24 glc
	s_waitcnt vmcnt(0)
	v_cmp_eq_u64_e32 vcc, v[8:9], v[10:11]
	v_mov_b32_e32 v11, v9
	s_or_b64 s[14:15], vcc, s[14:15]
	v_mov_b32_e32 v10, v8
	s_andn2_b64 exec, exec, s[14:15]
	s_cbranch_execnz .LBB6_360
	s_branch .LBB6_271
.LBB6_361:
	s_mov_b64 s[4:5], 0
	s_branch .LBB6_363
.LBB6_362:
	s_mov_b64 s[4:5], -1
.LBB6_363:
	s_and_b64 vcc, exec, s[4:5]
	s_cbranch_vccz .LBB6_390
; %bb.364:
	v_readfirstlane_b32 s4, v30
	s_waitcnt vmcnt(0)
	v_mov_b32_e32 v8, 0
	v_mov_b32_e32 v9, 0
	v_cmp_eq_u32_e64 s[4:5], s4, v30
	s_and_saveexec_b64 s[8:9], s[4:5]
	s_cbranch_execz .LBB6_370
; %bb.365:
	v_mov_b32_e32 v2, 0
	global_load_dwordx2 v[5:6], v2, s[6:7] offset:24 glc
	s_waitcnt vmcnt(0)
	buffer_wbinvl1_vol
	global_load_dwordx2 v[3:4], v2, s[6:7] offset:40
	global_load_dwordx2 v[7:8], v2, s[6:7]
	s_waitcnt vmcnt(1)
	v_and_b32_e32 v3, v3, v5
	v_and_b32_e32 v4, v4, v6
	v_mul_lo_u32 v4, v4, 24
	v_mul_hi_u32 v9, v3, 24
	v_mul_lo_u32 v3, v3, 24
	v_add_u32_e32 v4, v9, v4
	s_waitcnt vmcnt(0)
	v_add_co_u32_e32 v3, vcc, v7, v3
	v_addc_co_u32_e32 v4, vcc, v8, v4, vcc
	global_load_dwordx2 v[3:4], v[3:4], off glc
	s_waitcnt vmcnt(0)
	global_atomic_cmpswap_x2 v[8:9], v2, v[3:6], s[6:7] offset:24 glc
	s_waitcnt vmcnt(0)
	buffer_wbinvl1_vol
	v_cmp_ne_u64_e32 vcc, v[8:9], v[5:6]
	s_and_saveexec_b64 s[10:11], vcc
	s_cbranch_execz .LBB6_369
; %bb.366:
	s_mov_b64 s[12:13], 0
.LBB6_367:                              ; =>This Inner Loop Header: Depth=1
	s_sleep 1
	global_load_dwordx2 v[3:4], v2, s[6:7] offset:40
	global_load_dwordx2 v[10:11], v2, s[6:7]
	v_mov_b32_e32 v5, v8
	v_mov_b32_e32 v6, v9
	s_waitcnt vmcnt(1)
	v_and_b32_e32 v3, v3, v5
	s_waitcnt vmcnt(0)
	v_mad_u64_u32 v[7:8], s[14:15], v3, 24, v[10:11]
	v_and_b32_e32 v4, v4, v6
	v_mov_b32_e32 v3, v8
	v_mad_u64_u32 v[3:4], s[14:15], v4, 24, v[3:4]
	v_mov_b32_e32 v8, v3
	global_load_dwordx2 v[3:4], v[7:8], off glc
	s_waitcnt vmcnt(0)
	global_atomic_cmpswap_x2 v[8:9], v2, v[3:6], s[6:7] offset:24 glc
	s_waitcnt vmcnt(0)
	buffer_wbinvl1_vol
	v_cmp_eq_u64_e32 vcc, v[8:9], v[5:6]
	s_or_b64 s[12:13], vcc, s[12:13]
	s_andn2_b64 exec, exec, s[12:13]
	s_cbranch_execnz .LBB6_367
; %bb.368:
	s_or_b64 exec, exec, s[12:13]
.LBB6_369:
	s_or_b64 exec, exec, s[10:11]
.LBB6_370:
	s_or_b64 exec, exec, s[8:9]
	v_mov_b32_e32 v2, 0
	global_load_dwordx2 v[10:11], v2, s[6:7] offset:40
	global_load_dwordx4 v[4:7], v2, s[6:7]
	v_readfirstlane_b32 s9, v9
	v_readfirstlane_b32 s8, v8
	s_mov_b64 s[10:11], exec
	s_waitcnt vmcnt(1)
	v_readfirstlane_b32 s12, v10
	v_readfirstlane_b32 s13, v11
	s_and_b64 s[12:13], s[12:13], s[8:9]
	s_mul_i32 s14, s13, 24
	s_mul_hi_u32 s15, s12, 24
	s_mul_i32 s16, s12, 24
	s_add_i32 s14, s15, s14
	v_mov_b32_e32 v3, s14
	s_waitcnt vmcnt(0)
	v_add_co_u32_e32 v8, vcc, s16, v4
	v_addc_co_u32_e32 v9, vcc, v5, v3, vcc
	s_and_saveexec_b64 s[14:15], s[4:5]
	s_cbranch_execz .LBB6_372
; %bb.371:
	v_mov_b32_e32 v10, s10
	v_mov_b32_e32 v11, s11
	;; [unrolled: 1-line block ×4, first 2 shown]
	global_store_dwordx4 v[8:9], v[10:13], off offset:8
.LBB6_372:
	s_or_b64 exec, exec, s[14:15]
	s_lshl_b64 s[10:11], s[12:13], 12
	v_mov_b32_e32 v3, s11
	v_add_co_u32_e32 v6, vcc, s10, v6
	v_addc_co_u32_e32 v7, vcc, v7, v3, vcc
	s_movk_i32 s10, 0xff1d
	v_and_or_b32 v0, v0, s10, 34
	s_mov_b32 s12, 0
	v_mov_b32_e32 v3, v2
	v_readfirstlane_b32 s10, v6
	v_readfirstlane_b32 s11, v7
	s_mov_b32 s13, s12
	s_mov_b32 s14, s12
	;; [unrolled: 1-line block ×3, first 2 shown]
	s_nop 1
	global_store_dwordx4 v29, v[0:3], s[10:11]
	s_nop 0
	v_mov_b32_e32 v0, s12
	v_mov_b32_e32 v1, s13
	;; [unrolled: 1-line block ×4, first 2 shown]
	global_store_dwordx4 v29, v[0:3], s[10:11] offset:16
	global_store_dwordx4 v29, v[0:3], s[10:11] offset:32
	;; [unrolled: 1-line block ×3, first 2 shown]
	s_and_saveexec_b64 s[10:11], s[4:5]
	s_cbranch_execz .LBB6_380
; %bb.373:
	v_mov_b32_e32 v6, 0
	global_load_dwordx2 v[12:13], v6, s[6:7] offset:32 glc
	global_load_dwordx2 v[0:1], v6, s[6:7] offset:40
	v_mov_b32_e32 v10, s8
	v_mov_b32_e32 v11, s9
	s_waitcnt vmcnt(0)
	v_readfirstlane_b32 s12, v0
	v_readfirstlane_b32 s13, v1
	s_and_b64 s[12:13], s[12:13], s[8:9]
	s_mul_i32 s13, s13, 24
	s_mul_hi_u32 s14, s12, 24
	s_mul_i32 s12, s12, 24
	s_add_i32 s13, s14, s13
	v_mov_b32_e32 v0, s13
	v_add_co_u32_e32 v4, vcc, s12, v4
	v_addc_co_u32_e32 v5, vcc, v5, v0, vcc
	global_store_dwordx2 v[4:5], v[12:13], off
	s_waitcnt vmcnt(0)
	global_atomic_cmpswap_x2 v[2:3], v6, v[10:13], s[6:7] offset:32 glc
	s_waitcnt vmcnt(0)
	v_cmp_ne_u64_e32 vcc, v[2:3], v[12:13]
	s_and_saveexec_b64 s[12:13], vcc
	s_cbranch_execz .LBB6_376
; %bb.374:
	s_mov_b64 s[14:15], 0
.LBB6_375:                              ; =>This Inner Loop Header: Depth=1
	s_sleep 1
	global_store_dwordx2 v[4:5], v[2:3], off
	v_mov_b32_e32 v0, s8
	v_mov_b32_e32 v1, s9
	s_waitcnt vmcnt(0)
	global_atomic_cmpswap_x2 v[0:1], v6, v[0:3], s[6:7] offset:32 glc
	s_waitcnt vmcnt(0)
	v_cmp_eq_u64_e32 vcc, v[0:1], v[2:3]
	v_mov_b32_e32 v3, v1
	s_or_b64 s[14:15], vcc, s[14:15]
	v_mov_b32_e32 v2, v0
	s_andn2_b64 exec, exec, s[14:15]
	s_cbranch_execnz .LBB6_375
.LBB6_376:
	s_or_b64 exec, exec, s[12:13]
	v_mov_b32_e32 v3, 0
	global_load_dwordx2 v[0:1], v3, s[6:7] offset:16
	s_mov_b64 s[12:13], exec
	v_mbcnt_lo_u32_b32 v2, s12, 0
	v_mbcnt_hi_u32_b32 v2, s13, v2
	v_cmp_eq_u32_e32 vcc, 0, v2
	s_and_saveexec_b64 s[14:15], vcc
	s_cbranch_execz .LBB6_378
; %bb.377:
	s_bcnt1_i32_b64 s12, s[12:13]
	v_mov_b32_e32 v2, s12
	s_waitcnt vmcnt(0)
	global_atomic_add_x2 v[0:1], v[2:3], off offset:8
.LBB6_378:
	s_or_b64 exec, exec, s[14:15]
	s_waitcnt vmcnt(0)
	global_load_dwordx2 v[2:3], v[0:1], off offset:16
	s_waitcnt vmcnt(0)
	v_cmp_eq_u64_e32 vcc, 0, v[2:3]
	s_cbranch_vccnz .LBB6_380
; %bb.379:
	global_load_dword v0, v[0:1], off offset:24
	v_mov_b32_e32 v1, 0
	s_waitcnt vmcnt(0)
	v_readfirstlane_b32 s12, v0
	s_and_b32 m0, s12, 0xffffff
	global_store_dwordx2 v[2:3], v[0:1], off
	s_sendmsg sendmsg(MSG_INTERRUPT)
.LBB6_380:
	s_or_b64 exec, exec, s[10:11]
	s_branch .LBB6_384
.LBB6_381:                              ;   in Loop: Header=BB6_384 Depth=1
	s_or_b64 exec, exec, s[10:11]
	v_readfirstlane_b32 s10, v0
	s_cmp_eq_u32 s10, 0
	s_cbranch_scc1 .LBB6_383
; %bb.382:                              ;   in Loop: Header=BB6_384 Depth=1
	s_sleep 1
	s_cbranch_execnz .LBB6_384
	s_branch .LBB6_386
.LBB6_383:
	s_branch .LBB6_386
.LBB6_384:                              ; =>This Inner Loop Header: Depth=1
	v_mov_b32_e32 v0, 1
	s_and_saveexec_b64 s[10:11], s[4:5]
	s_cbranch_execz .LBB6_381
; %bb.385:                              ;   in Loop: Header=BB6_384 Depth=1
	global_load_dword v0, v[8:9], off offset:20 glc
	s_waitcnt vmcnt(0)
	buffer_wbinvl1_vol
	v_and_b32_e32 v0, 1, v0
	s_branch .LBB6_381
.LBB6_386:
	s_and_saveexec_b64 s[10:11], s[4:5]
	s_cbranch_execz .LBB6_389
; %bb.387:
	v_mov_b32_e32 v6, 0
	global_load_dwordx2 v[0:1], v6, s[6:7] offset:40
	global_load_dwordx2 v[9:10], v6, s[6:7] offset:24 glc
	global_load_dwordx2 v[2:3], v6, s[6:7]
	s_waitcnt vmcnt(2)
	v_readfirstlane_b32 s12, v0
	v_readfirstlane_b32 s13, v1
	s_add_u32 s14, s12, 1
	s_addc_u32 s15, s13, 0
	s_add_u32 s4, s14, s8
	s_addc_u32 s5, s15, s9
	s_cmp_eq_u64 s[4:5], 0
	s_cselect_b32 s5, s15, s5
	s_cselect_b32 s4, s14, s4
	s_and_b64 s[8:9], s[4:5], s[12:13]
	s_mul_i32 s9, s9, 24
	s_mul_hi_u32 s12, s8, 24
	s_mul_i32 s8, s8, 24
	s_add_i32 s9, s12, s9
	v_mov_b32_e32 v0, s9
	s_waitcnt vmcnt(0)
	v_add_co_u32_e32 v4, vcc, s8, v2
	v_addc_co_u32_e32 v5, vcc, v3, v0, vcc
	v_mov_b32_e32 v7, s4
	global_store_dwordx2 v[4:5], v[9:10], off
	v_mov_b32_e32 v8, s5
	s_waitcnt vmcnt(0)
	global_atomic_cmpswap_x2 v[2:3], v6, v[7:10], s[6:7] offset:24 glc
	s_mov_b64 s[8:9], 0
	s_waitcnt vmcnt(0)
	v_cmp_ne_u64_e32 vcc, v[2:3], v[9:10]
	s_and_b64 exec, exec, vcc
	s_cbranch_execz .LBB6_389
.LBB6_388:                              ; =>This Inner Loop Header: Depth=1
	s_sleep 1
	global_store_dwordx2 v[4:5], v[2:3], off
	v_mov_b32_e32 v0, s4
	v_mov_b32_e32 v1, s5
	s_waitcnt vmcnt(0)
	global_atomic_cmpswap_x2 v[0:1], v6, v[0:3], s[6:7] offset:24 glc
	s_waitcnt vmcnt(0)
	v_cmp_eq_u64_e32 vcc, v[0:1], v[2:3]
	v_mov_b32_e32 v3, v1
	s_or_b64 s[8:9], vcc, s[8:9]
	v_mov_b32_e32 v2, v0
	s_andn2_b64 exec, exec, s[8:9]
	s_cbranch_execnz .LBB6_388
.LBB6_389:
	s_or_b64 exec, exec, s[10:11]
.LBB6_390:
	s_getpc_b64 s[4:5]
	s_add_u32 s4, s4, .str.29@rel32@lo+4
	s_addc_u32 s5, s5, .str.29@rel32@hi+12
	s_getpc_b64 s[6:7]
	s_add_u32 s6, s6, .str.19@rel32@lo+4
	s_addc_u32 s7, s7, .str.19@rel32@hi+12
	s_getpc_b64 s[10:11]
	s_add_u32 s10, s10, __PRETTY_FUNCTION__._ZN7VecsMemIjLi8192EE5fetchEi@rel32@lo+4
	s_addc_u32 s11, s11, __PRETTY_FUNCTION__._ZN7VecsMemIjLi8192EE5fetchEi@rel32@hi+12
	s_getpc_b64 s[12:13]
	s_add_u32 s12, s12, __assert_fail@rel32@lo+4
	s_addc_u32 s13, s13, __assert_fail@rel32@hi+12
	s_mov_b64 s[8:9], s[64:65]
	s_waitcnt vmcnt(2)
	v_mov_b32_e32 v0, s4
	v_mov_b32_e32 v1, s5
	;; [unrolled: 1-line block ×6, first 2 shown]
	s_waitcnt vmcnt(0)
	v_mov_b32_e32 v6, s11
	s_swappc_b64 s[30:31], s[12:13]
	buffer_load_dword v19, off, s[0:3], s33 offset:168 ; 4-byte Folded Reload
	buffer_load_dword v20, off, s[0:3], s33 offset:172 ; 4-byte Folded Reload
	s_or_b64 s[4:5], s[28:29], exec
	v_mov_b32_e32 v6, v46
.LBB6_391:
	s_or_b64 exec, exec, s[62:63]
	s_andn2_b64 s[6:7], s[28:29], exec
	s_and_b64 s[4:5], s[4:5], exec
	s_or_b64 s[62:63], s[6:7], s[4:5]
	s_orn2_b64 s[4:5], s[60:61], exec
.LBB6_392:
	s_or_b64 exec, exec, s[58:59]
	s_mov_b64 s[6:7], 0
	s_and_saveexec_b64 s[58:59], s[4:5]
	s_cbranch_execz .LBB6_404
; %bb.393:
	v_mov_b32_e32 v0, 0
	v_cmp_lt_i32_e32 vcc, 0, v56
	buffer_store_dword v61, off, s[0:3], s33 offset:164
	buffer_store_dword v60, off, s[0:3], s33 offset:160
	s_and_saveexec_b64 s[4:5], vcc
	s_cbranch_execz .LBB6_401
; %bb.394:
	v_mov_b32_e32 v2, v58
	v_mov_b32_e32 v4, 0
	s_mov_b32 s10, 0
	v_mov_b32_e32 v3, v59
	v_mov_b32_e32 v0, 0
	s_branch .LBB6_396
.LBB6_395:                              ;   in Loop: Header=BB6_396 Depth=1
	s_or_b64 exec, exec, s[8:9]
	flat_load_dword v56, v[53:54] offset:4
	s_add_i32 s10, s10, 1
	s_waitcnt vmcnt(0) lgkmcnt(0)
	v_cmp_ge_i32_e32 vcc, s10, v56
	s_or_b64 s[6:7], vcc, s[6:7]
	v_add_co_u32_e32 v2, vcc, 4, v2
	v_addc_co_u32_e32 v3, vcc, 0, v3, vcc
	s_andn2_b64 exec, exec, s[6:7]
	s_cbranch_execz .LBB6_400
.LBB6_396:                              ; =>This Inner Loop Header: Depth=1
	flat_load_dword v5, v[2:3]
	s_waitcnt vmcnt(0) lgkmcnt(0)
	v_cmp_gt_i32_e32 vcc, 0, v5
	s_and_saveexec_b64 s[8:9], vcc
	s_xor_b64 s[8:9], exec, s[8:9]
	s_cbranch_execz .LBB6_398
; %bb.397:                              ;   in Loop: Header=BB6_396 Depth=1
	v_and_b32_e32 v1, 0x7fffffff, v5
	flat_store_dword v[2:3], v1
                                        ; implicit-def: $vgpr5
.LBB6_398:                              ;   in Loop: Header=BB6_396 Depth=1
	s_andn2_saveexec_b64 s[8:9], s[8:9]
	s_cbranch_execz .LBB6_395
; %bb.399:                              ;   in Loop: Header=BB6_396 Depth=1
	v_ashrrev_i32_e32 v1, 31, v0
	v_add_u32_e32 v4, 1, v0
	v_lshlrev_b64 v[0:1], 2, v[0:1]
	v_add_co_u32_e32 v0, vcc, v60, v0
	v_addc_co_u32_e32 v1, vcc, v61, v1, vcc
	flat_store_dword v[0:1], v5
	v_mov_b32_e32 v0, v4
	s_branch .LBB6_395
.LBB6_400:
	s_or_b64 exec, exec, s[6:7]
	buffer_store_dword v4, off, s[0:3], s33 offset:156
.LBB6_401:
	s_or_b64 exec, exec, s[4:5]
	v_cmp_ne_u32_e32 vcc, v6, v0
	s_mov_b64 s[4:5], -1
	s_mov_b64 s[6:7], s[62:63]
	s_and_saveexec_b64 s[8:9], vcc
	s_xor_b64 s[60:61], exec, s[8:9]
	s_cbranch_execz .LBB6_403
; %bb.402:
	s_getpc_b64 s[4:5]
	s_add_u32 s4, s4, .str.40@rel32@lo+4
	s_addc_u32 s5, s5, .str.40@rel32@hi+12
	s_getpc_b64 s[6:7]
	s_add_u32 s6, s6, .str.31@rel32@lo+4
	s_addc_u32 s7, s7, .str.31@rel32@hi+12
	s_getpc_b64 s[10:11]
	s_add_u32 s10, s10, __PRETTY_FUNCTION__._ZN3sop17sopDivideInternalEPNS_3SopES1_S1_S1_P7VecsMemIjLi8192EE@rel32@lo+4
	s_addc_u32 s11, s11, __PRETTY_FUNCTION__._ZN3sop17sopDivideInternalEPNS_3SopES1_S1_S1_P7VecsMemIjLi8192EE@rel32@hi+12
	s_getpc_b64 s[12:13]
	s_add_u32 s12, s12, __assert_fail@rel32@lo+4
	s_addc_u32 s13, s13, __assert_fail@rel32@hi+12
	s_mov_b64 s[8:9], s[64:65]
	v_mov_b32_e32 v0, s4
	v_mov_b32_e32 v1, s5
	;; [unrolled: 1-line block ×7, first 2 shown]
	s_waitcnt vmcnt(0)
	v_mov_b32_e32 v61, v20
	v_mov_b32_e32 v60, v19
	s_swappc_b64 s[30:31], s[12:13]
	v_mov_b32_e32 v19, v60
	v_mov_b32_e32 v20, v61
	s_or_b64 s[6:7], s[62:63], exec
	s_xor_b64 s[4:5], exec, -1
.LBB6_403:
	s_or_b64 exec, exec, s[60:61]
	s_andn2_b64 s[8:9], s[62:63], exec
	s_and_b64 s[6:7], s[6:7], exec
	s_or_b64 s[62:63], s[8:9], s[6:7]
	s_and_b64 s[6:7], s[4:5], exec
.LBB6_404:
	s_or_b64 exec, exec, s[58:59]
	s_andn2_b64 s[4:5], s[28:29], exec
	s_and_b64 s[8:9], s[62:63], exec
	s_or_b64 s[60:61], s[4:5], s[8:9]
	s_and_b64 s[58:59], s[6:7], exec
.LBB6_405:
	s_andn2_saveexec_b64 s[56:57], s[56:57]
	s_cbranch_execz .LBB6_407
; %bb.406:
	s_getpc_b64 s[4:5]
	s_add_u32 s4, s4, .str.39@rel32@lo+4
	s_addc_u32 s5, s5, .str.39@rel32@hi+12
	s_getpc_b64 s[6:7]
	s_add_u32 s6, s6, .str.31@rel32@lo+4
	s_addc_u32 s7, s7, .str.31@rel32@hi+12
	s_getpc_b64 s[10:11]
	s_add_u32 s10, s10, __PRETTY_FUNCTION__._ZN3sop17sopDivideInternalEPNS_3SopES1_S1_S1_P7VecsMemIjLi8192EE@rel32@lo+4
	s_addc_u32 s11, s11, __PRETTY_FUNCTION__._ZN3sop17sopDivideInternalEPNS_3SopES1_S1_S1_P7VecsMemIjLi8192EE@rel32@hi+12
	s_getpc_b64 s[12:13]
	s_add_u32 s12, s12, __assert_fail@rel32@lo+4
	s_addc_u32 s13, s13, __assert_fail@rel32@hi+12
	s_mov_b64 s[8:9], s[64:65]
	v_mov_b32_e32 v0, s4
	v_mov_b32_e32 v1, s5
	;; [unrolled: 1-line block ×7, first 2 shown]
	s_waitcnt vmcnt(0)
	v_mov_b32_e32 v61, v20
	buffer_store_dword v41, off, s[0:3], s33 offset:140
	v_mov_b32_e32 v60, v19
	s_swappc_b64 s[30:31], s[12:13]
	v_mov_b32_e32 v19, v60
	v_mov_b32_e32 v20, v61
	s_or_b64 s[60:61], s[60:61], exec
.LBB6_407:
	s_or_b64 exec, exec, s[56:57]
	s_andn2_b64 s[4:5], s[28:29], exec
	s_and_b64 s[6:7], s[60:61], exec
	s_or_b64 s[28:29], s[4:5], s[6:7]
	s_and_b64 s[6:7], s[58:59], exec
.LBB6_408:
	s_or_b64 exec, exec, s[40:41]
	s_andn2_b64 s[4:5], s[70:71], exec
	s_and_b64 s[8:9], s[28:29], exec
	s_or_b64 s[28:29], s[4:5], s[8:9]
	s_and_b64 s[4:5], s[6:7], exec
                                        ; implicit-def: $vgpr60_vgpr61
	s_or_saveexec_b64 s[6:7], s[26:27]
	s_mov_b64 s[60:61], 0
	s_xor_b64 exec, exec, s[6:7]
	s_cbranch_execz .LBB6_50
.LBB6_409:
	flat_load_dword v0, v[44:45]
	s_movk_i32 s16, 0x2001
	v_mov_b32_e32 v57, 0
	s_mov_b64 s[10:11], 0
	s_mov_b64 s[12:13], -1
	s_mov_b64 s[14:15], s[4:5]
	buffer_store_dword v57, off, s[0:3], s33 offset:140
                                        ; implicit-def: $vgpr55
                                        ; implicit-def: $vgpr19_vgpr20
                                        ; implicit-def: $vgpr58_vgpr59
	s_waitcnt vmcnt(0) lgkmcnt(0)
	v_add_u32_e32 v0, v0, v56
	v_cmp_gt_i32_e32 vcc, s16, v0
	s_and_saveexec_b64 s[8:9], vcc
	s_cbranch_execz .LBB6_419
; %bb.410:
	flat_load_dword v9, v[60:61]
	v_ashrrev_i32_e32 v1, 31, v0
	v_lshlrev_b64 v[2:3], 2, v[0:1]
	s_mov_b64 s[14:15], s[4:5]
	v_add_co_u32_e32 v4, vcc, v44, v2
	v_addc_co_u32_e32 v5, vcc, v45, v3, vcc
	v_lshlrev_b64 v[2:3], 2, v[56:57]
	flat_store_dword v[44:45], v0
	v_sub_co_u32_e32 v2, vcc, v4, v2
	v_subb_co_u32_e32 v3, vcc, v5, v3, vcc
	v_add_co_u32_e32 v19, vcc, 4, v2
	v_addc_co_u32_e32 v20, vcc, 0, v3, vcc
	v_add_u32_e32 v2, v0, v56
	v_cmp_gt_i32_e32 vcc, s16, v2
	s_mov_b64 s[16:17], -1
	buffer_store_dword v20, off, s[0:3], s33 offset:148
	buffer_store_dword v19, off, s[0:3], s33 offset:144
	;; [unrolled: 1-line block ×3, first 2 shown]
                                        ; implicit-def: $vgpr55
                                        ; implicit-def: $vgpr58_vgpr59
	s_and_saveexec_b64 s[10:11], vcc
	s_cbranch_execz .LBB6_418
; %bb.411:
	flat_load_dwordx2 v[58:59], v[53:54] offset:8
	v_ashrrev_i32_e32 v57, 31, v56
	v_sub_co_u32_e32 v6, vcc, 0, v56
	v_lshlrev_b64 v[14:15], 2, v[56:57]
	v_subb_co_u32_e64 v7, s[14:15], 0, 0, vcc
	v_lshlrev_b64 v[6:7], 2, v[6:7]
	v_add_co_u32_e32 v4, vcc, v4, v14
	v_addc_co_u32_e32 v5, vcc, v5, v15, vcc
	v_add_co_u32_e32 v14, vcc, v44, v6
	v_addc_co_u32_e32 v15, vcc, v45, v7, vcc
	;; [unrolled: 2-line block ×4, first 2 shown]
	flat_store_dword v[44:45], v2
	buffer_store_dword v5, off, s[0:3], s33 offset:164
	buffer_store_dword v4, off, s[0:3], s33 offset:160
	s_mov_b64 s[12:13], 0
	v_ashrrev_i32_e32 v3, 31, v2
	s_waitcnt vmcnt(0) lgkmcnt(0)
	v_not_b32_e32 v10, v9
	v_mov_b32_e32 v11, 0
	s_mov_b32 s16, 0
	v_mov_b32_e32 v12, 0
	v_mov_b32_e32 v13, 0
	;; [unrolled: 1-line block ×5, first 2 shown]
	s_branch .LBB6_413
.LBB6_412:                              ;   in Loop: Header=BB6_413 Depth=1
	s_or_b64 exec, exec, s[14:15]
	v_lshlrev_b64 v[7:8], 2, v[7:8]
	s_add_i32 s16, s16, 1
	v_add_co_u32_e32 v18, vcc, v14, v7
	v_ashrrev_i32_e32 v7, 31, v6
	v_lshlrev_b64 v[6:7], 2, v[6:7]
	v_addc_co_u32_e32 v8, vcc, v15, v8, vcc
	v_add_co_u32_e32 v6, vcc, v18, v6
	v_addc_co_u32_e32 v7, vcc, v8, v7, vcc
	flat_store_dword v[6:7], v16 offset:4
	flat_load_dword v56, v[53:54] offset:4
	v_add_co_u32_e32 v4, vcc, 4, v4
	v_addc_co_u32_e32 v5, vcc, 0, v5, vcc
	v_mov_b32_e32 v6, v17
	s_waitcnt vmcnt(0) lgkmcnt(0)
	v_cmp_ge_i32_e32 vcc, s16, v56
	s_or_b64 s[12:13], vcc, s[12:13]
	s_andn2_b64 exec, exec, s[12:13]
	s_cbranch_execz .LBB6_417
.LBB6_413:                              ; =>This Inner Loop Header: Depth=1
	flat_load_dword v16, v[4:5]
	s_waitcnt vmcnt(0) lgkmcnt(0)
	v_and_b32_e32 v7, v16, v9
	v_cmp_ne_u32_e32 vcc, v7, v9
	s_and_saveexec_b64 s[14:15], vcc
	s_xor_b64 s[14:15], exec, s[14:15]
; %bb.414:                              ;   in Loop: Header=BB6_413 Depth=1
	v_add_u32_e32 v12, 1, v6
; %bb.415:                              ;   in Loop: Header=BB6_413 Depth=1
	s_or_saveexec_b64 s[14:15], s[14:15]
	v_mov_b32_e32 v8, v3
	v_mov_b32_e32 v55, v13
	;; [unrolled: 1-line block ×4, first 2 shown]
	s_xor_b64 exec, exec, s[14:15]
	s_cbranch_execz .LBB6_412
; %bb.416:                              ;   in Loop: Header=BB6_413 Depth=1
	v_add_u32_e32 v11, 1, v13
	v_mov_b32_e32 v8, v1
	v_and_b32_e32 v16, v16, v10
	v_mov_b32_e32 v55, v11
	v_mov_b32_e32 v17, v6
	;; [unrolled: 1-line block ×5, first 2 shown]
	s_branch .LBB6_412
.LBB6_417:
	s_or_b64 exec, exec, s[12:13]
	s_xor_b64 s[16:17], exec, -1
	s_or_b64 s[14:15], s[4:5], exec
	buffer_store_dword v12, off, s[0:3], s33 offset:156
	buffer_store_dword v11, off, s[0:3], s33 offset:140
.LBB6_418:
	s_or_b64 exec, exec, s[10:11]
	s_and_b64 s[10:11], s[16:17], exec
	s_andn2_b64 s[16:17], s[4:5], exec
	s_and_b64 s[14:15], s[14:15], exec
	s_xor_b64 s[12:13], exec, -1
	s_or_b64 s[14:15], s[16:17], s[14:15]
.LBB6_419:
	s_or_b64 exec, exec, s[8:9]
	s_andn2_b64 s[4:5], s[4:5], exec
	s_and_b64 s[8:9], s[14:15], exec
	s_and_b64 s[60:61], s[12:13], exec
	;; [unrolled: 1-line block ×3, first 2 shown]
	s_or_b64 s[4:5], s[4:5], s[8:9]
	s_or_b64 exec, exec, s[6:7]
                                        ; implicit-def: $vgpr41
	s_and_saveexec_b64 s[62:63], s[4:5]
	s_cbranch_execz .LBB6_2561
.LBB6_420:
	v_cmp_gt_i32_e32 vcc, 1, v55
	s_mov_b64 s[40:41], s[28:29]
	s_and_saveexec_b64 s[4:5], vcc
	s_xor_b64 s[26:27], exec, s[4:5]
	s_cbranch_execz .LBB6_422
; %bb.421:
	s_getpc_b64 s[4:5]
	s_add_u32 s4, s4, .str.34@rel32@lo+4
	s_addc_u32 s5, s5, .str.34@rel32@hi+12
	s_getpc_b64 s[6:7]
	s_add_u32 s6, s6, .str.31@rel32@lo+4
	s_addc_u32 s7, s7, .str.31@rel32@hi+12
	s_getpc_b64 s[10:11]
	s_add_u32 s10, s10, __PRETTY_FUNCTION__._ZN3sop12sopFactorRecEPNS_3SopEiP7VecsMemIjLi8192EEPN8subgUtil4SubgILi256EEE@rel32@lo+4
	s_addc_u32 s11, s11, __PRETTY_FUNCTION__._ZN3sop12sopFactorRecEPNS_3SopEiP7VecsMemIjLi8192EEPN8subgUtil4SubgILi256EEE@rel32@hi+12
	s_getpc_b64 s[12:13]
	s_add_u32 s12, s12, __assert_fail@rel32@lo+4
	s_addc_u32 s13, s13, __assert_fail@rel32@hi+12
	s_mov_b64 s[8:9], s[64:65]
	v_mov_b32_e32 v0, s4
	v_mov_b32_e32 v1, s5
	;; [unrolled: 1-line block ×7, first 2 shown]
	s_swappc_b64 s[30:31], s[12:13]
	s_or_b64 s[40:41], s[28:29], exec
                                        ; implicit-def: $vgpr55
                                        ; implicit-def: $vgpr19_vgpr20
                                        ; implicit-def: $vgpr56
                                        ; implicit-def: $vgpr58_vgpr59
                                        ; implicit-def: $vgpr44_vgpr45
                                        ; implicit-def: $vgpr42_vgpr43
                                        ; implicit-def: $vgpr47
                                        ; implicit-def: $vgpr53_vgpr54
.LBB6_422:
	s_or_saveexec_b64 s[72:73], s[26:27]
                                        ; implicit-def: $vgpr41
	s_xor_b64 exec, exec, s[72:73]
	s_cbranch_execz .LBB6_2560
; %bb.423:
	v_cmp_ne_u32_e32 vcc, 1, v55
	s_mov_b64 s[76:77], 0
	s_mov_b64 s[58:59], 0
	;; [unrolled: 1-line block ×3, first 2 shown]
                                        ; implicit-def: $vgpr41
	s_and_saveexec_b64 s[4:5], vcc
	s_xor_b64 s[78:79], exec, s[4:5]
                                        ; implicit-def: $vgpr62 : SGPR spill to VGPR lane
	s_cbranch_execz .LBB6_1871
; %bb.424:
	s_waitcnt vmcnt(0)
	v_mov_b32_e32 v0, v19
	v_mov_b32_e32 v2, -1
	s_mov_b64 s[4:5], 0
	v_mov_b32_e32 v1, v20
	v_mov_b32_e32 v3, v55
.LBB6_425:                              ; =>This Inner Loop Header: Depth=1
	flat_load_dword v4, v[0:1]
	v_add_co_u32_e32 v0, vcc, 4, v0
	v_add_u32_e32 v3, -1, v3
	v_addc_co_u32_e32 v1, vcc, 0, v1, vcc
	v_cmp_eq_u32_e32 vcc, 0, v3
	s_or_b64 s[4:5], vcc, s[4:5]
	s_waitcnt vmcnt(0) lgkmcnt(0)
	v_and_b32_e32 v2, v4, v2
	s_andn2_b64 exec, exec, s[4:5]
	s_cbranch_execnz .LBB6_425
; %bb.426:
	s_or_b64 exec, exec, s[4:5]
	v_cmp_ne_u32_e32 vcc, 0, v2
	s_and_saveexec_b64 s[4:5], vcc
	s_cbranch_execz .LBB6_430
; %bb.427:
	v_mov_b32_e32 v0, v19
	v_not_b32_e32 v2, v2
	s_mov_b64 s[6:7], 0
	v_mov_b32_e32 v1, v20
	v_mov_b32_e32 v3, v55
.LBB6_428:                              ; =>This Inner Loop Header: Depth=1
	flat_load_dword v4, v[0:1]
	v_add_u32_e32 v3, -1, v3
	v_cmp_eq_u32_e32 vcc, 0, v3
	s_or_b64 s[6:7], vcc, s[6:7]
	s_waitcnt vmcnt(0) lgkmcnt(0)
	v_and_b32_e32 v4, v4, v2
	flat_store_dword v[0:1], v4
	v_add_co_u32_e32 v0, vcc, 4, v0
	v_addc_co_u32_e32 v1, vcc, 0, v1, vcc
	s_andn2_b64 exec, exec, s[6:7]
	s_cbranch_execnz .LBB6_428
; %bb.429:
	s_or_b64 exec, exec, s[6:7]
	flat_load_dword v56, v[53:54] offset:4
.LBB6_430:
	s_or_b64 exec, exec, s[4:5]
	s_waitcnt vmcnt(0) lgkmcnt(0)
	v_cmp_ge_i32_e32 vcc, v56, v55
	s_mov_b64 s[26:27], 0
	s_mov_b64 s[56:57], s[40:41]
                                        ; implicit-def: $vgpr41
	s_and_saveexec_b64 s[4:5], vcc
	s_xor_b64 s[88:89], exec, s[4:5]
	s_cbranch_execz .LBB6_1868
; %bb.431:
	v_mov_b32_e32 v15, 0
	v_mov_b32_e32 v0, 0
	v_cmp_le_u32_e32 vcc, v55, v56
	s_mov_b64 s[4:5], -1
	v_mov_b32_e32 v16, 0
	s_mov_b64 s[26:27], s[40:41]
	buffer_store_dword v0, off, s[0:3], s33 offset:124
	s_and_saveexec_b64 s[56:57], vcc
	s_cbranch_execz .LBB6_583
; %bb.432:
	flat_load_dword v2, v[44:45]
	v_cvt_f32_u32_e32 v0, v55
	v_sub_u32_e32 v1, 0, v55
	v_mov_b32_e32 v15, 0
	v_mov_b32_e32 v16, 0
	v_rcp_iflag_f32_e32 v0, v0
	s_mov_b64 s[58:59], 0
	v_mul_f32_e32 v0, 0x4f7ffffe, v0
	v_cvt_u32_f32_e32 v0, v0
	v_mul_lo_u32 v1, v1, v0
	v_mul_hi_u32 v1, v0, v1
	v_add_u32_e32 v0, v0, v1
	v_mad_u64_u32 v[0:1], s[4:5], v56, v0, 0
	s_movk_i32 s4, 0x2001
	v_mul_lo_u32 v0, v1, v55
	v_add_u32_e32 v3, 1, v1
	v_sub_u32_e32 v0, v56, v0
	v_cmp_ge_u32_e32 vcc, v0, v55
	v_cndmask_b32_e32 v1, v1, v3, vcc
	v_sub_u32_e32 v3, v0, v55
	v_cndmask_b32_e32 v0, v0, v3, vcc
	v_add_u32_e32 v3, 1, v1
	v_cmp_ge_u32_e32 vcc, v0, v55
	v_cndmask_b32_e32 v0, v1, v3, vcc
	s_waitcnt vmcnt(0) lgkmcnt(0)
	v_add_u32_e32 v1, v2, v0
	v_cmp_gt_i32_e32 vcc, s4, v1
	s_and_saveexec_b64 s[4:5], vcc
	s_xor_b64 s[4:5], exec, s[4:5]
	s_cbranch_execz .LBB6_434
; %bb.433:
	v_ashrrev_i32_e32 v2, 31, v1
	flat_store_dword v[44:45], v1
	v_lshlrev_b64 v[1:2], 2, v[1:2]
	s_mov_b64 s[58:59], exec
	v_add_co_u32_e32 v3, vcc, v44, v1
	v_mov_b32_e32 v1, 0
	v_lshlrev_b64 v[0:1], 2, v[0:1]
	v_addc_co_u32_e32 v2, vcc, v45, v2, vcc
	v_sub_co_u32_e32 v0, vcc, v3, v0
	v_subb_co_u32_e32 v1, vcc, v2, v1, vcc
	v_add_co_u32_e32 v15, vcc, 4, v0
	v_addc_co_u32_e32 v16, vcc, 0, v1, vcc
.LBB6_434:
	s_or_saveexec_b64 s[26:27], s[4:5]
	s_mov_b64 s[4:5], s[40:41]
	s_xor_b64 exec, exec, s[26:27]
	s_cbranch_execz .LBB6_582
; %bb.435:
	s_load_dwordx2 s[6:7], s[64:65], 0x50
	v_mbcnt_lo_u32_b32 v0, -1, 0
	v_mbcnt_hi_u32_b32 v30, -1, v0
	v_readfirstlane_b32 s4, v30
	v_mov_b32_e32 v5, 0
	v_mov_b32_e32 v6, 0
	v_cmp_eq_u32_e64 s[4:5], s4, v30
	s_and_saveexec_b64 s[8:9], s[4:5]
	s_cbranch_execz .LBB6_441
; %bb.436:
	v_mov_b32_e32 v0, 0
	s_waitcnt lgkmcnt(0)
	global_load_dwordx2 v[3:4], v0, s[6:7] offset:24 glc
	s_waitcnt vmcnt(0)
	buffer_wbinvl1_vol
	global_load_dwordx2 v[1:2], v0, s[6:7] offset:40
	global_load_dwordx2 v[5:6], v0, s[6:7]
	s_waitcnt vmcnt(1)
	v_and_b32_e32 v1, v1, v3
	v_and_b32_e32 v2, v2, v4
	v_mul_lo_u32 v2, v2, 24
	v_mul_hi_u32 v7, v1, 24
	v_mul_lo_u32 v1, v1, 24
	v_add_u32_e32 v2, v7, v2
	s_waitcnt vmcnt(0)
	v_add_co_u32_e32 v1, vcc, v5, v1
	v_addc_co_u32_e32 v2, vcc, v6, v2, vcc
	global_load_dwordx2 v[1:2], v[1:2], off glc
	s_waitcnt vmcnt(0)
	global_atomic_cmpswap_x2 v[5:6], v0, v[1:4], s[6:7] offset:24 glc
	s_waitcnt vmcnt(0)
	buffer_wbinvl1_vol
	v_cmp_ne_u64_e32 vcc, v[5:6], v[3:4]
	s_and_saveexec_b64 s[10:11], vcc
	s_cbranch_execz .LBB6_440
; %bb.437:
	s_mov_b64 s[12:13], 0
.LBB6_438:                              ; =>This Inner Loop Header: Depth=1
	s_sleep 1
	global_load_dwordx2 v[1:2], v0, s[6:7] offset:40
	global_load_dwordx2 v[7:8], v0, s[6:7]
	v_mov_b32_e32 v3, v5
	v_mov_b32_e32 v4, v6
	s_waitcnt vmcnt(1)
	v_and_b32_e32 v1, v1, v3
	s_waitcnt vmcnt(0)
	v_mad_u64_u32 v[5:6], s[14:15], v1, 24, v[7:8]
	v_and_b32_e32 v2, v2, v4
	v_mov_b32_e32 v1, v6
	v_mad_u64_u32 v[1:2], s[14:15], v2, 24, v[1:2]
	v_mov_b32_e32 v6, v1
	global_load_dwordx2 v[1:2], v[5:6], off glc
	s_waitcnt vmcnt(0)
	global_atomic_cmpswap_x2 v[5:6], v0, v[1:4], s[6:7] offset:24 glc
	s_waitcnt vmcnt(0)
	buffer_wbinvl1_vol
	v_cmp_eq_u64_e32 vcc, v[5:6], v[3:4]
	s_or_b64 s[12:13], vcc, s[12:13]
	s_andn2_b64 exec, exec, s[12:13]
	s_cbranch_execnz .LBB6_438
; %bb.439:
	s_or_b64 exec, exec, s[12:13]
.LBB6_440:
	s_or_b64 exec, exec, s[10:11]
.LBB6_441:
	s_or_b64 exec, exec, s[8:9]
	v_mov_b32_e32 v4, 0
	s_waitcnt lgkmcnt(0)
	global_load_dwordx2 v[7:8], v4, s[6:7] offset:40
	global_load_dwordx4 v[0:3], v4, s[6:7]
	v_readfirstlane_b32 s9, v6
	v_readfirstlane_b32 s8, v5
	s_mov_b64 s[10:11], exec
	s_waitcnt vmcnt(0)
	v_readfirstlane_b32 s12, v7
	v_readfirstlane_b32 s13, v8
	s_and_b64 s[12:13], s[12:13], s[8:9]
	s_mul_i32 s14, s13, 24
	s_mul_hi_u32 s15, s12, 24
	s_mul_i32 s16, s12, 24
	s_add_i32 s14, s15, s14
	v_mov_b32_e32 v5, s14
	v_add_co_u32_e32 v7, vcc, s16, v0
	v_addc_co_u32_e32 v8, vcc, v1, v5, vcc
	s_and_saveexec_b64 s[14:15], s[4:5]
	s_cbranch_execz .LBB6_443
; %bb.442:
	v_mov_b32_e32 v9, s10
	v_mov_b32_e32 v10, s11
	;; [unrolled: 1-line block ×4, first 2 shown]
	global_store_dwordx4 v[7:8], v[9:12], off offset:8
.LBB6_443:
	s_or_b64 exec, exec, s[14:15]
	s_lshl_b64 s[10:11], s[12:13], 12
	v_mov_b32_e32 v5, s11
	v_add_co_u32_e32 v2, vcc, s10, v2
	v_addc_co_u32_e32 v11, vcc, v3, v5, vcc
	v_lshlrev_b32_e32 v29, 6, v30
	s_mov_b32 s12, 0
	v_mov_b32_e32 v3, 33
	v_mov_b32_e32 v5, v4
	;; [unrolled: 1-line block ×3, first 2 shown]
	v_readfirstlane_b32 s10, v2
	v_readfirstlane_b32 s11, v11
	v_add_co_u32_e32 v9, vcc, v2, v29
	s_mov_b32 s13, s12
	s_mov_b32 s14, s12
	;; [unrolled: 1-line block ×3, first 2 shown]
	s_nop 0
	global_store_dwordx4 v29, v[3:6], s[10:11]
	v_mov_b32_e32 v2, s12
	v_addc_co_u32_e32 v10, vcc, 0, v11, vcc
	v_mov_b32_e32 v3, s13
	v_mov_b32_e32 v4, s14
	;; [unrolled: 1-line block ×3, first 2 shown]
	global_store_dwordx4 v29, v[2:5], s[10:11] offset:16
	global_store_dwordx4 v29, v[2:5], s[10:11] offset:32
	;; [unrolled: 1-line block ×3, first 2 shown]
	s_and_saveexec_b64 s[10:11], s[4:5]
	s_cbranch_execz .LBB6_451
; %bb.444:
	v_mov_b32_e32 v6, 0
	global_load_dwordx2 v[13:14], v6, s[6:7] offset:32 glc
	global_load_dwordx2 v[2:3], v6, s[6:7] offset:40
	v_mov_b32_e32 v11, s8
	v_mov_b32_e32 v12, s9
	s_waitcnt vmcnt(0)
	v_and_b32_e32 v2, s8, v2
	v_and_b32_e32 v3, s9, v3
	v_mul_lo_u32 v3, v3, 24
	v_mul_hi_u32 v4, v2, 24
	v_mul_lo_u32 v2, v2, 24
	v_add_u32_e32 v3, v4, v3
	v_add_co_u32_e32 v4, vcc, v0, v2
	v_addc_co_u32_e32 v5, vcc, v1, v3, vcc
	global_store_dwordx2 v[4:5], v[13:14], off
	s_waitcnt vmcnt(0)
	global_atomic_cmpswap_x2 v[2:3], v6, v[11:14], s[6:7] offset:32 glc
	s_waitcnt vmcnt(0)
	v_cmp_ne_u64_e32 vcc, v[2:3], v[13:14]
	s_and_saveexec_b64 s[12:13], vcc
	s_cbranch_execz .LBB6_447
; %bb.445:
	s_mov_b64 s[14:15], 0
.LBB6_446:                              ; =>This Inner Loop Header: Depth=1
	s_sleep 1
	global_store_dwordx2 v[4:5], v[2:3], off
	v_mov_b32_e32 v0, s8
	v_mov_b32_e32 v1, s9
	s_waitcnt vmcnt(0)
	global_atomic_cmpswap_x2 v[0:1], v6, v[0:3], s[6:7] offset:32 glc
	s_waitcnt vmcnt(0)
	v_cmp_eq_u64_e32 vcc, v[0:1], v[2:3]
	v_mov_b32_e32 v3, v1
	s_or_b64 s[14:15], vcc, s[14:15]
	v_mov_b32_e32 v2, v0
	s_andn2_b64 exec, exec, s[14:15]
	s_cbranch_execnz .LBB6_446
.LBB6_447:
	s_or_b64 exec, exec, s[12:13]
	v_mov_b32_e32 v3, 0
	global_load_dwordx2 v[0:1], v3, s[6:7] offset:16
	s_mov_b64 s[12:13], exec
	v_mbcnt_lo_u32_b32 v2, s12, 0
	v_mbcnt_hi_u32_b32 v2, s13, v2
	v_cmp_eq_u32_e32 vcc, 0, v2
	s_and_saveexec_b64 s[14:15], vcc
	s_cbranch_execz .LBB6_449
; %bb.448:
	s_bcnt1_i32_b64 s12, s[12:13]
	v_mov_b32_e32 v2, s12
	s_waitcnt vmcnt(0)
	global_atomic_add_x2 v[0:1], v[2:3], off offset:8
.LBB6_449:
	s_or_b64 exec, exec, s[14:15]
	s_waitcnt vmcnt(0)
	global_load_dwordx2 v[2:3], v[0:1], off offset:16
	s_waitcnt vmcnt(0)
	v_cmp_eq_u64_e32 vcc, 0, v[2:3]
	s_cbranch_vccnz .LBB6_451
; %bb.450:
	global_load_dword v0, v[0:1], off offset:24
	v_mov_b32_e32 v1, 0
	s_waitcnt vmcnt(0)
	v_readfirstlane_b32 s12, v0
	s_and_b32 m0, s12, 0xffffff
	global_store_dwordx2 v[2:3], v[0:1], off
	s_sendmsg sendmsg(MSG_INTERRUPT)
.LBB6_451:
	s_or_b64 exec, exec, s[10:11]
	s_branch .LBB6_455
.LBB6_452:                              ;   in Loop: Header=BB6_455 Depth=1
	s_or_b64 exec, exec, s[10:11]
	v_readfirstlane_b32 s10, v0
	s_cmp_eq_u32 s10, 0
	s_cbranch_scc1 .LBB6_454
; %bb.453:                              ;   in Loop: Header=BB6_455 Depth=1
	s_sleep 1
	s_cbranch_execnz .LBB6_455
	s_branch .LBB6_457
.LBB6_454:
	s_branch .LBB6_457
.LBB6_455:                              ; =>This Inner Loop Header: Depth=1
	v_mov_b32_e32 v0, 1
	s_and_saveexec_b64 s[10:11], s[4:5]
	s_cbranch_execz .LBB6_452
; %bb.456:                              ;   in Loop: Header=BB6_455 Depth=1
	global_load_dword v0, v[7:8], off offset:20 glc
	s_waitcnt vmcnt(0)
	buffer_wbinvl1_vol
	v_and_b32_e32 v0, 1, v0
	s_branch .LBB6_452
.LBB6_457:
	global_load_dwordx2 v[0:1], v[9:10], off
	s_and_saveexec_b64 s[10:11], s[4:5]
	s_cbranch_execz .LBB6_460
; %bb.458:
	v_mov_b32_e32 v8, 0
	global_load_dwordx2 v[2:3], v8, s[6:7] offset:40
	global_load_dwordx2 v[11:12], v8, s[6:7] offset:24 glc
	global_load_dwordx2 v[4:5], v8, s[6:7]
	s_waitcnt vmcnt(2)
	v_readfirstlane_b32 s12, v2
	v_readfirstlane_b32 s13, v3
	s_add_u32 s14, s12, 1
	s_addc_u32 s15, s13, 0
	s_add_u32 s4, s14, s8
	s_addc_u32 s5, s15, s9
	s_cmp_eq_u64 s[4:5], 0
	s_cselect_b32 s5, s15, s5
	s_cselect_b32 s4, s14, s4
	s_and_b64 s[8:9], s[4:5], s[12:13]
	s_mul_i32 s9, s9, 24
	s_mul_hi_u32 s12, s8, 24
	s_mul_i32 s8, s8, 24
	s_add_i32 s9, s12, s9
	v_mov_b32_e32 v2, s9
	s_waitcnt vmcnt(0)
	v_add_co_u32_e32 v6, vcc, s8, v4
	v_addc_co_u32_e32 v7, vcc, v5, v2, vcc
	v_mov_b32_e32 v9, s4
	global_store_dwordx2 v[6:7], v[11:12], off
	v_mov_b32_e32 v10, s5
	s_waitcnt vmcnt(0)
	global_atomic_cmpswap_x2 v[4:5], v8, v[9:12], s[6:7] offset:24 glc
	s_mov_b64 s[8:9], 0
	s_waitcnt vmcnt(0)
	v_cmp_ne_u64_e32 vcc, v[4:5], v[11:12]
	s_and_b64 exec, exec, vcc
	s_cbranch_execz .LBB6_460
.LBB6_459:                              ; =>This Inner Loop Header: Depth=1
	s_sleep 1
	global_store_dwordx2 v[6:7], v[4:5], off
	v_mov_b32_e32 v2, s4
	v_mov_b32_e32 v3, s5
	s_waitcnt vmcnt(0)
	global_atomic_cmpswap_x2 v[2:3], v8, v[2:5], s[6:7] offset:24 glc
	s_waitcnt vmcnt(0)
	v_cmp_eq_u64_e32 vcc, v[2:3], v[4:5]
	v_mov_b32_e32 v5, v3
	s_or_b64 s[8:9], vcc, s[8:9]
	v_mov_b32_e32 v4, v2
	s_andn2_b64 exec, exec, s[8:9]
	s_cbranch_execnz .LBB6_459
.LBB6_460:
	s_or_b64 exec, exec, s[10:11]
	v_mov_b32_e32 v61, v20
	s_getpc_b64 s[8:9]
	s_add_u32 s8, s8, .str.28@rel32@lo+4
	s_addc_u32 s9, s9, .str.28@rel32@hi+12
	v_mov_b32_e32 v60, v19
	s_cmp_lg_u64 s[8:9], 0
	buffer_store_dword v15, off, s[0:3], s33 offset:168 ; 4-byte Folded Spill
	s_nop 0
	buffer_store_dword v16, off, s[0:3], s33 offset:172 ; 4-byte Folded Spill
	s_cbranch_scc0 .LBB6_553
; %bb.461:
	s_waitcnt vmcnt(2)
	v_and_b32_e32 v6, -3, v0
	v_mov_b32_e32 v7, v1
	s_mov_b64 s[10:11], 35
	v_mov_b32_e32 v26, 0
	v_mov_b32_e32 v4, 2
	;; [unrolled: 1-line block ×3, first 2 shown]
	s_branch .LBB6_463
.LBB6_462:                              ;   in Loop: Header=BB6_463 Depth=1
	s_or_b64 exec, exec, s[16:17]
	s_sub_u32 s10, s10, s12
	s_subb_u32 s11, s11, s13
	s_add_u32 s8, s8, s12
	s_addc_u32 s9, s9, s13
	s_cmp_lg_u64 s[10:11], 0
	s_cbranch_scc0 .LBB6_552
.LBB6_463:                              ; =>This Loop Header: Depth=1
                                        ;     Child Loop BB6_466 Depth 2
                                        ;     Child Loop BB6_475 Depth 2
	;; [unrolled: 1-line block ×11, first 2 shown]
	v_cmp_lt_u64_e64 s[4:5], s[10:11], 56
	v_cmp_gt_u64_e64 s[14:15], s[10:11], 7
	s_and_b64 s[4:5], s[4:5], exec
	s_cselect_b32 s13, s11, 0
	s_cselect_b32 s12, s10, 56
	s_add_u32 s4, s8, 8
	s_addc_u32 s5, s9, 0
	s_and_b64 vcc, exec, s[14:15]
	s_cbranch_vccnz .LBB6_467
; %bb.464:                              ;   in Loop: Header=BB6_463 Depth=1
	s_cmp_eq_u64 s[10:11], 0
	s_cbranch_scc1 .LBB6_468
; %bb.465:                              ;   in Loop: Header=BB6_463 Depth=1
	s_waitcnt vmcnt(0)
	v_mov_b32_e32 v8, 0
	s_lshl_b64 s[4:5], s[12:13], 3
	s_mov_b64 s[14:15], 0
	v_mov_b32_e32 v9, 0
	s_mov_b64 s[16:17], s[8:9]
.LBB6_466:                              ;   Parent Loop BB6_463 Depth=1
                                        ; =>  This Inner Loop Header: Depth=2
	global_load_ubyte v2, v26, s[16:17]
	s_waitcnt vmcnt(0)
	v_and_b32_e32 v25, 0xffff, v2
	v_lshlrev_b64 v[2:3], s14, v[25:26]
	s_add_u32 s14, s14, 8
	s_addc_u32 s15, s15, 0
	s_add_u32 s16, s16, 1
	s_addc_u32 s17, s17, 0
	v_or_b32_e32 v8, v2, v8
	s_cmp_lg_u32 s4, s14
	v_or_b32_e32 v9, v3, v9
	s_cbranch_scc1 .LBB6_466
	s_branch .LBB6_469
.LBB6_467:                              ;   in Loop: Header=BB6_463 Depth=1
	s_mov_b64 s[14:15], -1
	s_branch .LBB6_470
.LBB6_468:                              ;   in Loop: Header=BB6_463 Depth=1
	s_waitcnt vmcnt(0)
	v_mov_b32_e32 v8, 0
	v_mov_b32_e32 v9, 0
.LBB6_469:                              ;   in Loop: Header=BB6_463 Depth=1
	s_mov_b64 s[14:15], 0
	s_mov_b64 s[4:5], s[8:9]
.LBB6_470:                              ;   in Loop: Header=BB6_463 Depth=1
	s_andn2_b64 vcc, exec, s[14:15]
	s_mov_b32 s18, 0
	s_cbranch_vccnz .LBB6_472
; %bb.471:                              ;   in Loop: Header=BB6_463 Depth=1
	global_load_dwordx2 v[8:9], v26, s[8:9]
	s_add_i32 s18, s12, -8
.LBB6_472:                              ;   in Loop: Header=BB6_463 Depth=1
	s_add_u32 s14, s4, 8
	s_addc_u32 s15, s5, 0
	s_cmp_gt_u32 s18, 7
	s_cbranch_scc1 .LBB6_476
; %bb.473:                              ;   in Loop: Header=BB6_463 Depth=1
	s_cmp_eq_u32 s18, 0
	s_cbranch_scc1 .LBB6_477
; %bb.474:                              ;   in Loop: Header=BB6_463 Depth=1
	v_mov_b32_e32 v10, 0
	s_mov_b64 s[14:15], 0
	v_mov_b32_e32 v11, 0
	s_mov_b64 s[16:17], 0
.LBB6_475:                              ;   Parent Loop BB6_463 Depth=1
                                        ; =>  This Inner Loop Header: Depth=2
	s_add_u32 s20, s4, s16
	s_addc_u32 s21, s5, s17
	global_load_ubyte v2, v26, s[20:21]
	s_add_u32 s16, s16, 1
	s_addc_u32 s17, s17, 0
	s_waitcnt vmcnt(0)
	v_and_b32_e32 v25, 0xffff, v2
	v_lshlrev_b64 v[2:3], s14, v[25:26]
	s_add_u32 s14, s14, 8
	s_addc_u32 s15, s15, 0
	v_or_b32_e32 v10, v2, v10
	s_cmp_lg_u32 s18, s16
	v_or_b32_e32 v11, v3, v11
	s_cbranch_scc1 .LBB6_475
	s_branch .LBB6_478
.LBB6_476:                              ;   in Loop: Header=BB6_463 Depth=1
	s_mov_b64 s[16:17], -1
                                        ; implicit-def: $vgpr10_vgpr11
	s_branch .LBB6_479
.LBB6_477:                              ;   in Loop: Header=BB6_463 Depth=1
	v_mov_b32_e32 v10, 0
	v_mov_b32_e32 v11, 0
.LBB6_478:                              ;   in Loop: Header=BB6_463 Depth=1
	s_mov_b64 s[16:17], 0
	s_mov_b64 s[14:15], s[4:5]
.LBB6_479:                              ;   in Loop: Header=BB6_463 Depth=1
	s_andn2_b64 vcc, exec, s[16:17]
	s_mov_b32 s19, 0
	s_cbranch_vccnz .LBB6_481
; %bb.480:                              ;   in Loop: Header=BB6_463 Depth=1
	global_load_dwordx2 v[10:11], v26, s[4:5]
	s_add_i32 s19, s18, -8
.LBB6_481:                              ;   in Loop: Header=BB6_463 Depth=1
	s_add_u32 s4, s14, 8
	s_addc_u32 s5, s15, 0
	s_cmp_gt_u32 s19, 7
	s_cbranch_scc1 .LBB6_485
; %bb.482:                              ;   in Loop: Header=BB6_463 Depth=1
	s_cmp_eq_u32 s19, 0
	s_cbranch_scc1 .LBB6_486
; %bb.483:                              ;   in Loop: Header=BB6_463 Depth=1
	v_mov_b32_e32 v12, 0
	s_mov_b64 s[4:5], 0
	v_mov_b32_e32 v13, 0
	s_mov_b64 s[16:17], 0
.LBB6_484:                              ;   Parent Loop BB6_463 Depth=1
                                        ; =>  This Inner Loop Header: Depth=2
	s_add_u32 s20, s14, s16
	s_addc_u32 s21, s15, s17
	global_load_ubyte v2, v26, s[20:21]
	s_add_u32 s16, s16, 1
	s_addc_u32 s17, s17, 0
	s_waitcnt vmcnt(0)
	v_and_b32_e32 v25, 0xffff, v2
	v_lshlrev_b64 v[2:3], s4, v[25:26]
	s_add_u32 s4, s4, 8
	s_addc_u32 s5, s5, 0
	v_or_b32_e32 v12, v2, v12
	s_cmp_lg_u32 s19, s16
	v_or_b32_e32 v13, v3, v13
	s_cbranch_scc1 .LBB6_484
	s_branch .LBB6_487
.LBB6_485:                              ;   in Loop: Header=BB6_463 Depth=1
	s_mov_b64 s[16:17], -1
	s_branch .LBB6_488
.LBB6_486:                              ;   in Loop: Header=BB6_463 Depth=1
	v_mov_b32_e32 v12, 0
	v_mov_b32_e32 v13, 0
.LBB6_487:                              ;   in Loop: Header=BB6_463 Depth=1
	s_mov_b64 s[16:17], 0
	s_mov_b64 s[4:5], s[14:15]
.LBB6_488:                              ;   in Loop: Header=BB6_463 Depth=1
	s_andn2_b64 vcc, exec, s[16:17]
	s_mov_b32 s18, 0
	s_cbranch_vccnz .LBB6_490
; %bb.489:                              ;   in Loop: Header=BB6_463 Depth=1
	global_load_dwordx2 v[12:13], v26, s[14:15]
	s_add_i32 s18, s19, -8
.LBB6_490:                              ;   in Loop: Header=BB6_463 Depth=1
	s_add_u32 s14, s4, 8
	s_addc_u32 s15, s5, 0
	s_cmp_gt_u32 s18, 7
	s_cbranch_scc1 .LBB6_494
; %bb.491:                              ;   in Loop: Header=BB6_463 Depth=1
	s_cmp_eq_u32 s18, 0
	s_cbranch_scc1 .LBB6_495
; %bb.492:                              ;   in Loop: Header=BB6_463 Depth=1
	v_mov_b32_e32 v14, 0
	s_mov_b64 s[14:15], 0
	v_mov_b32_e32 v15, 0
	s_mov_b64 s[16:17], 0
.LBB6_493:                              ;   Parent Loop BB6_463 Depth=1
                                        ; =>  This Inner Loop Header: Depth=2
	s_add_u32 s20, s4, s16
	s_addc_u32 s21, s5, s17
	global_load_ubyte v2, v26, s[20:21]
	s_add_u32 s16, s16, 1
	s_addc_u32 s17, s17, 0
	s_waitcnt vmcnt(0)
	v_and_b32_e32 v25, 0xffff, v2
	v_lshlrev_b64 v[2:3], s14, v[25:26]
	s_add_u32 s14, s14, 8
	s_addc_u32 s15, s15, 0
	v_or_b32_e32 v14, v2, v14
	s_cmp_lg_u32 s18, s16
	v_or_b32_e32 v15, v3, v15
	s_cbranch_scc1 .LBB6_493
	s_branch .LBB6_496
.LBB6_494:                              ;   in Loop: Header=BB6_463 Depth=1
	s_mov_b64 s[16:17], -1
                                        ; implicit-def: $vgpr14_vgpr15
	s_branch .LBB6_497
.LBB6_495:                              ;   in Loop: Header=BB6_463 Depth=1
	v_mov_b32_e32 v14, 0
	v_mov_b32_e32 v15, 0
.LBB6_496:                              ;   in Loop: Header=BB6_463 Depth=1
	s_mov_b64 s[16:17], 0
	s_mov_b64 s[14:15], s[4:5]
.LBB6_497:                              ;   in Loop: Header=BB6_463 Depth=1
	s_andn2_b64 vcc, exec, s[16:17]
	s_mov_b32 s19, 0
	s_cbranch_vccnz .LBB6_499
; %bb.498:                              ;   in Loop: Header=BB6_463 Depth=1
	global_load_dwordx2 v[14:15], v26, s[4:5]
	s_add_i32 s19, s18, -8
.LBB6_499:                              ;   in Loop: Header=BB6_463 Depth=1
	s_add_u32 s4, s14, 8
	s_addc_u32 s5, s15, 0
	s_cmp_gt_u32 s19, 7
	s_cbranch_scc1 .LBB6_503
; %bb.500:                              ;   in Loop: Header=BB6_463 Depth=1
	s_cmp_eq_u32 s19, 0
	s_cbranch_scc1 .LBB6_504
; %bb.501:                              ;   in Loop: Header=BB6_463 Depth=1
	v_mov_b32_e32 v16, 0
	s_mov_b64 s[4:5], 0
	v_mov_b32_e32 v17, 0
	s_mov_b64 s[16:17], 0
.LBB6_502:                              ;   Parent Loop BB6_463 Depth=1
                                        ; =>  This Inner Loop Header: Depth=2
	s_add_u32 s20, s14, s16
	s_addc_u32 s21, s15, s17
	global_load_ubyte v2, v26, s[20:21]
	s_add_u32 s16, s16, 1
	s_addc_u32 s17, s17, 0
	s_waitcnt vmcnt(0)
	v_and_b32_e32 v25, 0xffff, v2
	v_lshlrev_b64 v[2:3], s4, v[25:26]
	s_add_u32 s4, s4, 8
	s_addc_u32 s5, s5, 0
	v_or_b32_e32 v16, v2, v16
	s_cmp_lg_u32 s19, s16
	v_or_b32_e32 v17, v3, v17
	s_cbranch_scc1 .LBB6_502
	s_branch .LBB6_505
.LBB6_503:                              ;   in Loop: Header=BB6_463 Depth=1
	s_mov_b64 s[16:17], -1
	s_branch .LBB6_506
.LBB6_504:                              ;   in Loop: Header=BB6_463 Depth=1
	v_mov_b32_e32 v16, 0
	v_mov_b32_e32 v17, 0
.LBB6_505:                              ;   in Loop: Header=BB6_463 Depth=1
	s_mov_b64 s[16:17], 0
	s_mov_b64 s[4:5], s[14:15]
.LBB6_506:                              ;   in Loop: Header=BB6_463 Depth=1
	s_andn2_b64 vcc, exec, s[16:17]
	s_mov_b32 s18, 0
	s_cbranch_vccnz .LBB6_508
; %bb.507:                              ;   in Loop: Header=BB6_463 Depth=1
	global_load_dwordx2 v[16:17], v26, s[14:15]
	s_add_i32 s18, s19, -8
.LBB6_508:                              ;   in Loop: Header=BB6_463 Depth=1
	s_add_u32 s14, s4, 8
	s_addc_u32 s15, s5, 0
	s_cmp_gt_u32 s18, 7
	s_cbranch_scc1 .LBB6_512
; %bb.509:                              ;   in Loop: Header=BB6_463 Depth=1
	s_cmp_eq_u32 s18, 0
	s_cbranch_scc1 .LBB6_513
; %bb.510:                              ;   in Loop: Header=BB6_463 Depth=1
	v_mov_b32_e32 v18, 0
	s_mov_b64 s[14:15], 0
	v_mov_b32_e32 v19, 0
	s_mov_b64 s[16:17], 0
.LBB6_511:                              ;   Parent Loop BB6_463 Depth=1
                                        ; =>  This Inner Loop Header: Depth=2
	s_add_u32 s20, s4, s16
	s_addc_u32 s21, s5, s17
	global_load_ubyte v2, v26, s[20:21]
	s_add_u32 s16, s16, 1
	s_addc_u32 s17, s17, 0
	s_waitcnt vmcnt(0)
	v_and_b32_e32 v25, 0xffff, v2
	v_lshlrev_b64 v[2:3], s14, v[25:26]
	s_add_u32 s14, s14, 8
	s_addc_u32 s15, s15, 0
	v_or_b32_e32 v18, v2, v18
	s_cmp_lg_u32 s18, s16
	v_or_b32_e32 v19, v3, v19
	s_cbranch_scc1 .LBB6_511
	s_branch .LBB6_514
.LBB6_512:                              ;   in Loop: Header=BB6_463 Depth=1
	s_mov_b64 s[16:17], -1
                                        ; implicit-def: $vgpr18_vgpr19
	s_branch .LBB6_515
.LBB6_513:                              ;   in Loop: Header=BB6_463 Depth=1
	v_mov_b32_e32 v18, 0
	v_mov_b32_e32 v19, 0
.LBB6_514:                              ;   in Loop: Header=BB6_463 Depth=1
	s_mov_b64 s[16:17], 0
	s_mov_b64 s[14:15], s[4:5]
.LBB6_515:                              ;   in Loop: Header=BB6_463 Depth=1
	s_andn2_b64 vcc, exec, s[16:17]
	s_mov_b32 s19, 0
	s_cbranch_vccnz .LBB6_517
; %bb.516:                              ;   in Loop: Header=BB6_463 Depth=1
	global_load_dwordx2 v[18:19], v26, s[4:5]
	s_add_i32 s19, s18, -8
.LBB6_517:                              ;   in Loop: Header=BB6_463 Depth=1
	s_cmp_gt_u32 s19, 7
	s_cbranch_scc1 .LBB6_521
; %bb.518:                              ;   in Loop: Header=BB6_463 Depth=1
	s_cmp_eq_u32 s19, 0
	s_cbranch_scc1 .LBB6_522
; %bb.519:                              ;   in Loop: Header=BB6_463 Depth=1
	v_mov_b32_e32 v20, 0
	s_mov_b64 s[4:5], 0
	v_mov_b32_e32 v21, 0
	s_mov_b64 s[16:17], s[14:15]
.LBB6_520:                              ;   Parent Loop BB6_463 Depth=1
                                        ; =>  This Inner Loop Header: Depth=2
	global_load_ubyte v2, v26, s[16:17]
	s_add_i32 s19, s19, -1
	s_waitcnt vmcnt(0)
	v_and_b32_e32 v25, 0xffff, v2
	v_lshlrev_b64 v[2:3], s4, v[25:26]
	s_add_u32 s4, s4, 8
	s_addc_u32 s5, s5, 0
	s_add_u32 s16, s16, 1
	s_addc_u32 s17, s17, 0
	v_or_b32_e32 v20, v2, v20
	s_cmp_lg_u32 s19, 0
	v_or_b32_e32 v21, v3, v21
	s_cbranch_scc1 .LBB6_520
	s_branch .LBB6_523
.LBB6_521:                              ;   in Loop: Header=BB6_463 Depth=1
	s_mov_b64 s[4:5], -1
	s_branch .LBB6_524
.LBB6_522:                              ;   in Loop: Header=BB6_463 Depth=1
	v_mov_b32_e32 v20, 0
	v_mov_b32_e32 v21, 0
.LBB6_523:                              ;   in Loop: Header=BB6_463 Depth=1
	s_mov_b64 s[4:5], 0
.LBB6_524:                              ;   in Loop: Header=BB6_463 Depth=1
	s_andn2_b64 vcc, exec, s[4:5]
	s_cbranch_vccnz .LBB6_526
; %bb.525:                              ;   in Loop: Header=BB6_463 Depth=1
	global_load_dwordx2 v[20:21], v26, s[14:15]
.LBB6_526:                              ;   in Loop: Header=BB6_463 Depth=1
	v_readfirstlane_b32 s4, v30
	v_mov_b32_e32 v2, 0
	v_mov_b32_e32 v3, 0
	v_cmp_eq_u32_e64 s[4:5], s4, v30
	s_and_saveexec_b64 s[14:15], s[4:5]
	s_cbranch_execz .LBB6_532
; %bb.527:                              ;   in Loop: Header=BB6_463 Depth=1
	global_load_dwordx2 v[24:25], v26, s[6:7] offset:24 glc
	s_waitcnt vmcnt(0)
	buffer_wbinvl1_vol
	global_load_dwordx2 v[2:3], v26, s[6:7] offset:40
	global_load_dwordx2 v[22:23], v26, s[6:7]
	s_waitcnt vmcnt(1)
	v_and_b32_e32 v2, v2, v24
	v_and_b32_e32 v3, v3, v25
	v_mul_lo_u32 v3, v3, 24
	v_mul_hi_u32 v27, v2, 24
	v_mul_lo_u32 v2, v2, 24
	v_add_u32_e32 v3, v27, v3
	s_waitcnt vmcnt(0)
	v_add_co_u32_e32 v2, vcc, v22, v2
	v_addc_co_u32_e32 v3, vcc, v23, v3, vcc
	global_load_dwordx2 v[22:23], v[2:3], off glc
	s_waitcnt vmcnt(0)
	global_atomic_cmpswap_x2 v[2:3], v26, v[22:25], s[6:7] offset:24 glc
	s_waitcnt vmcnt(0)
	buffer_wbinvl1_vol
	v_cmp_ne_u64_e32 vcc, v[2:3], v[24:25]
	s_and_saveexec_b64 s[16:17], vcc
	s_cbranch_execz .LBB6_531
; %bb.528:                              ;   in Loop: Header=BB6_463 Depth=1
	s_mov_b64 s[18:19], 0
.LBB6_529:                              ;   Parent Loop BB6_463 Depth=1
                                        ; =>  This Inner Loop Header: Depth=2
	s_sleep 1
	global_load_dwordx2 v[22:23], v26, s[6:7] offset:40
	global_load_dwordx2 v[27:28], v26, s[6:7]
	v_mov_b32_e32 v25, v3
	v_mov_b32_e32 v24, v2
	s_waitcnt vmcnt(1)
	v_and_b32_e32 v2, v22, v24
	s_waitcnt vmcnt(0)
	v_mad_u64_u32 v[2:3], s[20:21], v2, 24, v[27:28]
	v_and_b32_e32 v22, v23, v25
	v_mad_u64_u32 v[22:23], s[20:21], v22, 24, v[3:4]
	v_mov_b32_e32 v3, v22
	global_load_dwordx2 v[22:23], v[2:3], off glc
	s_waitcnt vmcnt(0)
	global_atomic_cmpswap_x2 v[2:3], v26, v[22:25], s[6:7] offset:24 glc
	s_waitcnt vmcnt(0)
	buffer_wbinvl1_vol
	v_cmp_eq_u64_e32 vcc, v[2:3], v[24:25]
	s_or_b64 s[18:19], vcc, s[18:19]
	s_andn2_b64 exec, exec, s[18:19]
	s_cbranch_execnz .LBB6_529
; %bb.530:                              ;   in Loop: Header=BB6_463 Depth=1
	s_or_b64 exec, exec, s[18:19]
.LBB6_531:                              ;   in Loop: Header=BB6_463 Depth=1
	s_or_b64 exec, exec, s[16:17]
.LBB6_532:                              ;   in Loop: Header=BB6_463 Depth=1
	s_or_b64 exec, exec, s[14:15]
	global_load_dwordx2 v[27:28], v26, s[6:7] offset:40
	global_load_dwordx4 v[22:25], v26, s[6:7]
	v_readfirstlane_b32 s15, v3
	v_readfirstlane_b32 s14, v2
	s_mov_b64 s[16:17], exec
	s_waitcnt vmcnt(1)
	v_readfirstlane_b32 s18, v27
	v_readfirstlane_b32 s19, v28
	s_and_b64 s[18:19], s[18:19], s[14:15]
	s_mul_i32 s20, s19, 24
	s_mul_hi_u32 s21, s18, 24
	s_mul_i32 s22, s18, 24
	s_add_i32 s20, s21, s20
	v_mov_b32_e32 v2, s20
	s_waitcnt vmcnt(0)
	v_add_co_u32_e32 v27, vcc, s22, v22
	v_addc_co_u32_e32 v28, vcc, v23, v2, vcc
	s_and_saveexec_b64 s[20:21], s[4:5]
	s_cbranch_execz .LBB6_534
; %bb.533:                              ;   in Loop: Header=BB6_463 Depth=1
	v_mov_b32_e32 v2, s16
	v_mov_b32_e32 v3, s17
	global_store_dwordx4 v[27:28], v[2:5], off offset:8
.LBB6_534:                              ;   in Loop: Header=BB6_463 Depth=1
	s_or_b64 exec, exec, s[20:21]
	s_lshl_b64 s[16:17], s[18:19], 12
	v_cmp_gt_u64_e64 s[18:19], s[10:11], 56
	v_mov_b32_e32 v2, s17
	v_add_co_u32_e32 v24, vcc, s16, v24
	s_and_b64 s[16:17], s[18:19], exec
	s_cselect_b32 s16, 0, 2
	s_lshl_b32 s17, s12, 2
	v_addc_co_u32_e32 v31, vcc, v25, v2, vcc
	s_add_i32 s17, s17, 28
	v_and_b32_e32 v2, 0xffffff1f, v6
	s_and_b32 s17, s17, 0x1e0
	v_or_b32_e32 v2, s16, v2
	v_or_b32_e32 v6, s17, v2
	v_readfirstlane_b32 s16, v24
	v_readfirstlane_b32 s17, v31
	s_nop 4
	global_store_dwordx4 v29, v[6:9], s[16:17]
	global_store_dwordx4 v29, v[10:13], s[16:17] offset:16
	global_store_dwordx4 v29, v[14:17], s[16:17] offset:32
	global_store_dwordx4 v29, v[18:21], s[16:17] offset:48
	s_and_saveexec_b64 s[16:17], s[4:5]
	s_cbranch_execz .LBB6_542
; %bb.535:                              ;   in Loop: Header=BB6_463 Depth=1
	global_load_dwordx2 v[10:11], v26, s[6:7] offset:32 glc
	global_load_dwordx2 v[2:3], v26, s[6:7] offset:40
	v_mov_b32_e32 v8, s14
	v_mov_b32_e32 v9, s15
	s_waitcnt vmcnt(0)
	v_readfirstlane_b32 s18, v2
	v_readfirstlane_b32 s19, v3
	s_and_b64 s[18:19], s[18:19], s[14:15]
	s_mul_i32 s19, s19, 24
	s_mul_hi_u32 s20, s18, 24
	s_mul_i32 s18, s18, 24
	s_add_i32 s19, s20, s19
	v_mov_b32_e32 v3, s19
	v_add_co_u32_e32 v2, vcc, s18, v22
	v_addc_co_u32_e32 v3, vcc, v23, v3, vcc
	global_store_dwordx2 v[2:3], v[10:11], off
	s_waitcnt vmcnt(0)
	global_atomic_cmpswap_x2 v[8:9], v26, v[8:11], s[6:7] offset:32 glc
	s_waitcnt vmcnt(0)
	v_cmp_ne_u64_e32 vcc, v[8:9], v[10:11]
	s_and_saveexec_b64 s[18:19], vcc
	s_cbranch_execz .LBB6_538
; %bb.536:                              ;   in Loop: Header=BB6_463 Depth=1
	s_mov_b64 s[20:21], 0
.LBB6_537:                              ;   Parent Loop BB6_463 Depth=1
                                        ; =>  This Inner Loop Header: Depth=2
	s_sleep 1
	global_store_dwordx2 v[2:3], v[8:9], off
	v_mov_b32_e32 v6, s14
	v_mov_b32_e32 v7, s15
	s_waitcnt vmcnt(0)
	global_atomic_cmpswap_x2 v[6:7], v26, v[6:9], s[6:7] offset:32 glc
	s_waitcnt vmcnt(0)
	v_cmp_eq_u64_e32 vcc, v[6:7], v[8:9]
	v_mov_b32_e32 v9, v7
	s_or_b64 s[20:21], vcc, s[20:21]
	v_mov_b32_e32 v8, v6
	s_andn2_b64 exec, exec, s[20:21]
	s_cbranch_execnz .LBB6_537
.LBB6_538:                              ;   in Loop: Header=BB6_463 Depth=1
	s_or_b64 exec, exec, s[18:19]
	global_load_dwordx2 v[2:3], v26, s[6:7] offset:16
	s_mov_b64 s[20:21], exec
	v_mbcnt_lo_u32_b32 v6, s20, 0
	v_mbcnt_hi_u32_b32 v6, s21, v6
	v_cmp_eq_u32_e32 vcc, 0, v6
	s_and_saveexec_b64 s[18:19], vcc
	s_cbranch_execz .LBB6_540
; %bb.539:                              ;   in Loop: Header=BB6_463 Depth=1
	s_bcnt1_i32_b64 s20, s[20:21]
	v_mov_b32_e32 v25, s20
	s_waitcnt vmcnt(0)
	global_atomic_add_x2 v[2:3], v[25:26], off offset:8
.LBB6_540:                              ;   in Loop: Header=BB6_463 Depth=1
	s_or_b64 exec, exec, s[18:19]
	s_waitcnt vmcnt(0)
	global_load_dwordx2 v[6:7], v[2:3], off offset:16
	s_waitcnt vmcnt(0)
	v_cmp_eq_u64_e32 vcc, 0, v[6:7]
	s_cbranch_vccnz .LBB6_542
; %bb.541:                              ;   in Loop: Header=BB6_463 Depth=1
	global_load_dword v25, v[2:3], off offset:24
	s_waitcnt vmcnt(0)
	v_readfirstlane_b32 s18, v25
	s_and_b32 m0, s18, 0xffffff
	global_store_dwordx2 v[6:7], v[25:26], off
	s_sendmsg sendmsg(MSG_INTERRUPT)
.LBB6_542:                              ;   in Loop: Header=BB6_463 Depth=1
	s_or_b64 exec, exec, s[16:17]
	v_add_co_u32_e32 v2, vcc, v24, v29
	v_addc_co_u32_e32 v3, vcc, 0, v31, vcc
	s_branch .LBB6_546
.LBB6_543:                              ;   in Loop: Header=BB6_546 Depth=2
	s_or_b64 exec, exec, s[16:17]
	v_readfirstlane_b32 s16, v6
	s_cmp_eq_u32 s16, 0
	s_cbranch_scc1 .LBB6_545
; %bb.544:                              ;   in Loop: Header=BB6_546 Depth=2
	s_sleep 1
	s_cbranch_execnz .LBB6_546
	s_branch .LBB6_548
.LBB6_545:                              ;   in Loop: Header=BB6_463 Depth=1
	s_branch .LBB6_548
.LBB6_546:                              ;   Parent Loop BB6_463 Depth=1
                                        ; =>  This Inner Loop Header: Depth=2
	v_mov_b32_e32 v6, 1
	s_and_saveexec_b64 s[16:17], s[4:5]
	s_cbranch_execz .LBB6_543
; %bb.547:                              ;   in Loop: Header=BB6_546 Depth=2
	global_load_dword v6, v[27:28], off offset:20 glc
	s_waitcnt vmcnt(0)
	buffer_wbinvl1_vol
	v_and_b32_e32 v6, 1, v6
	s_branch .LBB6_543
.LBB6_548:                              ;   in Loop: Header=BB6_463 Depth=1
	global_load_dwordx4 v[6:9], v[2:3], off
	s_and_saveexec_b64 s[16:17], s[4:5]
	s_cbranch_execz .LBB6_462
; %bb.549:                              ;   in Loop: Header=BB6_463 Depth=1
	global_load_dwordx2 v[2:3], v26, s[6:7] offset:40
	global_load_dwordx2 v[12:13], v26, s[6:7] offset:24 glc
	global_load_dwordx2 v[8:9], v26, s[6:7]
	s_waitcnt vmcnt(2)
	v_readfirstlane_b32 s18, v2
	v_readfirstlane_b32 s19, v3
	s_add_u32 s20, s18, 1
	s_addc_u32 s21, s19, 0
	s_add_u32 s4, s20, s14
	s_addc_u32 s5, s21, s15
	s_cmp_eq_u64 s[4:5], 0
	s_cselect_b32 s5, s21, s5
	s_cselect_b32 s4, s20, s4
	s_and_b64 s[14:15], s[4:5], s[18:19]
	s_mul_i32 s15, s15, 24
	s_mul_hi_u32 s18, s14, 24
	s_mul_i32 s14, s14, 24
	s_add_i32 s15, s18, s15
	v_mov_b32_e32 v3, s15
	s_waitcnt vmcnt(0)
	v_add_co_u32_e32 v2, vcc, s14, v8
	v_addc_co_u32_e32 v3, vcc, v9, v3, vcc
	v_mov_b32_e32 v10, s4
	global_store_dwordx2 v[2:3], v[12:13], off
	v_mov_b32_e32 v11, s5
	s_waitcnt vmcnt(0)
	global_atomic_cmpswap_x2 v[10:11], v26, v[10:13], s[6:7] offset:24 glc
	s_waitcnt vmcnt(0)
	v_cmp_ne_u64_e32 vcc, v[10:11], v[12:13]
	s_and_b64 exec, exec, vcc
	s_cbranch_execz .LBB6_462
; %bb.550:                              ;   in Loop: Header=BB6_463 Depth=1
	s_mov_b64 s[14:15], 0
.LBB6_551:                              ;   Parent Loop BB6_463 Depth=1
                                        ; =>  This Inner Loop Header: Depth=2
	s_sleep 1
	global_store_dwordx2 v[2:3], v[10:11], off
	v_mov_b32_e32 v8, s4
	v_mov_b32_e32 v9, s5
	s_waitcnt vmcnt(0)
	global_atomic_cmpswap_x2 v[8:9], v26, v[8:11], s[6:7] offset:24 glc
	s_waitcnt vmcnt(0)
	v_cmp_eq_u64_e32 vcc, v[8:9], v[10:11]
	v_mov_b32_e32 v11, v9
	s_or_b64 s[14:15], vcc, s[14:15]
	v_mov_b32_e32 v10, v8
	s_andn2_b64 exec, exec, s[14:15]
	s_cbranch_execnz .LBB6_551
	s_branch .LBB6_462
.LBB6_552:
	s_mov_b64 s[4:5], 0
	s_branch .LBB6_554
.LBB6_553:
	s_mov_b64 s[4:5], -1
.LBB6_554:
	s_and_b64 vcc, exec, s[4:5]
	s_cbranch_vccz .LBB6_581
; %bb.555:
	v_readfirstlane_b32 s4, v30
	s_waitcnt vmcnt(0)
	v_mov_b32_e32 v8, 0
	v_mov_b32_e32 v9, 0
	v_cmp_eq_u32_e64 s[4:5], s4, v30
	s_and_saveexec_b64 s[8:9], s[4:5]
	s_cbranch_execz .LBB6_561
; %bb.556:
	v_mov_b32_e32 v2, 0
	global_load_dwordx2 v[5:6], v2, s[6:7] offset:24 glc
	s_waitcnt vmcnt(0)
	buffer_wbinvl1_vol
	global_load_dwordx2 v[3:4], v2, s[6:7] offset:40
	global_load_dwordx2 v[7:8], v2, s[6:7]
	s_waitcnt vmcnt(1)
	v_and_b32_e32 v3, v3, v5
	v_and_b32_e32 v4, v4, v6
	v_mul_lo_u32 v4, v4, 24
	v_mul_hi_u32 v9, v3, 24
	v_mul_lo_u32 v3, v3, 24
	v_add_u32_e32 v4, v9, v4
	s_waitcnt vmcnt(0)
	v_add_co_u32_e32 v3, vcc, v7, v3
	v_addc_co_u32_e32 v4, vcc, v8, v4, vcc
	global_load_dwordx2 v[3:4], v[3:4], off glc
	s_waitcnt vmcnt(0)
	global_atomic_cmpswap_x2 v[8:9], v2, v[3:6], s[6:7] offset:24 glc
	s_waitcnt vmcnt(0)
	buffer_wbinvl1_vol
	v_cmp_ne_u64_e32 vcc, v[8:9], v[5:6]
	s_and_saveexec_b64 s[10:11], vcc
	s_cbranch_execz .LBB6_560
; %bb.557:
	s_mov_b64 s[12:13], 0
.LBB6_558:                              ; =>This Inner Loop Header: Depth=1
	s_sleep 1
	global_load_dwordx2 v[3:4], v2, s[6:7] offset:40
	global_load_dwordx2 v[10:11], v2, s[6:7]
	v_mov_b32_e32 v5, v8
	v_mov_b32_e32 v6, v9
	s_waitcnt vmcnt(1)
	v_and_b32_e32 v3, v3, v5
	s_waitcnt vmcnt(0)
	v_mad_u64_u32 v[7:8], s[14:15], v3, 24, v[10:11]
	v_and_b32_e32 v4, v4, v6
	v_mov_b32_e32 v3, v8
	v_mad_u64_u32 v[3:4], s[14:15], v4, 24, v[3:4]
	v_mov_b32_e32 v8, v3
	global_load_dwordx2 v[3:4], v[7:8], off glc
	s_waitcnt vmcnt(0)
	global_atomic_cmpswap_x2 v[8:9], v2, v[3:6], s[6:7] offset:24 glc
	s_waitcnt vmcnt(0)
	buffer_wbinvl1_vol
	v_cmp_eq_u64_e32 vcc, v[8:9], v[5:6]
	s_or_b64 s[12:13], vcc, s[12:13]
	s_andn2_b64 exec, exec, s[12:13]
	s_cbranch_execnz .LBB6_558
; %bb.559:
	s_or_b64 exec, exec, s[12:13]
.LBB6_560:
	s_or_b64 exec, exec, s[10:11]
.LBB6_561:
	s_or_b64 exec, exec, s[8:9]
	v_mov_b32_e32 v2, 0
	global_load_dwordx2 v[10:11], v2, s[6:7] offset:40
	global_load_dwordx4 v[4:7], v2, s[6:7]
	v_readfirstlane_b32 s9, v9
	v_readfirstlane_b32 s8, v8
	s_mov_b64 s[10:11], exec
	s_waitcnt vmcnt(1)
	v_readfirstlane_b32 s12, v10
	v_readfirstlane_b32 s13, v11
	s_and_b64 s[12:13], s[12:13], s[8:9]
	s_mul_i32 s14, s13, 24
	s_mul_hi_u32 s15, s12, 24
	s_mul_i32 s16, s12, 24
	s_add_i32 s14, s15, s14
	v_mov_b32_e32 v3, s14
	s_waitcnt vmcnt(0)
	v_add_co_u32_e32 v8, vcc, s16, v4
	v_addc_co_u32_e32 v9, vcc, v5, v3, vcc
	s_and_saveexec_b64 s[14:15], s[4:5]
	s_cbranch_execz .LBB6_563
; %bb.562:
	v_mov_b32_e32 v10, s10
	v_mov_b32_e32 v11, s11
	;; [unrolled: 1-line block ×4, first 2 shown]
	global_store_dwordx4 v[8:9], v[10:13], off offset:8
.LBB6_563:
	s_or_b64 exec, exec, s[14:15]
	s_lshl_b64 s[10:11], s[12:13], 12
	v_mov_b32_e32 v3, s11
	v_add_co_u32_e32 v6, vcc, s10, v6
	v_addc_co_u32_e32 v7, vcc, v7, v3, vcc
	s_movk_i32 s10, 0xff1d
	v_and_or_b32 v0, v0, s10, 34
	s_mov_b32 s12, 0
	v_mov_b32_e32 v3, v2
	v_readfirstlane_b32 s10, v6
	v_readfirstlane_b32 s11, v7
	s_mov_b32 s13, s12
	s_mov_b32 s14, s12
	;; [unrolled: 1-line block ×3, first 2 shown]
	s_nop 1
	global_store_dwordx4 v29, v[0:3], s[10:11]
	s_nop 0
	v_mov_b32_e32 v0, s12
	v_mov_b32_e32 v1, s13
	;; [unrolled: 1-line block ×4, first 2 shown]
	global_store_dwordx4 v29, v[0:3], s[10:11] offset:16
	global_store_dwordx4 v29, v[0:3], s[10:11] offset:32
	;; [unrolled: 1-line block ×3, first 2 shown]
	s_and_saveexec_b64 s[10:11], s[4:5]
	s_cbranch_execz .LBB6_571
; %bb.564:
	v_mov_b32_e32 v6, 0
	global_load_dwordx2 v[12:13], v6, s[6:7] offset:32 glc
	global_load_dwordx2 v[0:1], v6, s[6:7] offset:40
	v_mov_b32_e32 v10, s8
	v_mov_b32_e32 v11, s9
	s_waitcnt vmcnt(0)
	v_readfirstlane_b32 s12, v0
	v_readfirstlane_b32 s13, v1
	s_and_b64 s[12:13], s[12:13], s[8:9]
	s_mul_i32 s13, s13, 24
	s_mul_hi_u32 s14, s12, 24
	s_mul_i32 s12, s12, 24
	s_add_i32 s13, s14, s13
	v_mov_b32_e32 v0, s13
	v_add_co_u32_e32 v4, vcc, s12, v4
	v_addc_co_u32_e32 v5, vcc, v5, v0, vcc
	global_store_dwordx2 v[4:5], v[12:13], off
	s_waitcnt vmcnt(0)
	global_atomic_cmpswap_x2 v[2:3], v6, v[10:13], s[6:7] offset:32 glc
	s_waitcnt vmcnt(0)
	v_cmp_ne_u64_e32 vcc, v[2:3], v[12:13]
	s_and_saveexec_b64 s[12:13], vcc
	s_cbranch_execz .LBB6_567
; %bb.565:
	s_mov_b64 s[14:15], 0
.LBB6_566:                              ; =>This Inner Loop Header: Depth=1
	s_sleep 1
	global_store_dwordx2 v[4:5], v[2:3], off
	v_mov_b32_e32 v0, s8
	v_mov_b32_e32 v1, s9
	s_waitcnt vmcnt(0)
	global_atomic_cmpswap_x2 v[0:1], v6, v[0:3], s[6:7] offset:32 glc
	s_waitcnt vmcnt(0)
	v_cmp_eq_u64_e32 vcc, v[0:1], v[2:3]
	v_mov_b32_e32 v3, v1
	s_or_b64 s[14:15], vcc, s[14:15]
	v_mov_b32_e32 v2, v0
	s_andn2_b64 exec, exec, s[14:15]
	s_cbranch_execnz .LBB6_566
.LBB6_567:
	s_or_b64 exec, exec, s[12:13]
	v_mov_b32_e32 v3, 0
	global_load_dwordx2 v[0:1], v3, s[6:7] offset:16
	s_mov_b64 s[12:13], exec
	v_mbcnt_lo_u32_b32 v2, s12, 0
	v_mbcnt_hi_u32_b32 v2, s13, v2
	v_cmp_eq_u32_e32 vcc, 0, v2
	s_and_saveexec_b64 s[14:15], vcc
	s_cbranch_execz .LBB6_569
; %bb.568:
	s_bcnt1_i32_b64 s12, s[12:13]
	v_mov_b32_e32 v2, s12
	s_waitcnt vmcnt(0)
	global_atomic_add_x2 v[0:1], v[2:3], off offset:8
.LBB6_569:
	s_or_b64 exec, exec, s[14:15]
	s_waitcnt vmcnt(0)
	global_load_dwordx2 v[2:3], v[0:1], off offset:16
	s_waitcnt vmcnt(0)
	v_cmp_eq_u64_e32 vcc, 0, v[2:3]
	s_cbranch_vccnz .LBB6_571
; %bb.570:
	global_load_dword v0, v[0:1], off offset:24
	v_mov_b32_e32 v1, 0
	s_waitcnt vmcnt(0)
	v_readfirstlane_b32 s12, v0
	s_and_b32 m0, s12, 0xffffff
	global_store_dwordx2 v[2:3], v[0:1], off
	s_sendmsg sendmsg(MSG_INTERRUPT)
.LBB6_571:
	s_or_b64 exec, exec, s[10:11]
	s_branch .LBB6_575
.LBB6_572:                              ;   in Loop: Header=BB6_575 Depth=1
	s_or_b64 exec, exec, s[10:11]
	v_readfirstlane_b32 s10, v0
	s_cmp_eq_u32 s10, 0
	s_cbranch_scc1 .LBB6_574
; %bb.573:                              ;   in Loop: Header=BB6_575 Depth=1
	s_sleep 1
	s_cbranch_execnz .LBB6_575
	s_branch .LBB6_577
.LBB6_574:
	s_branch .LBB6_577
.LBB6_575:                              ; =>This Inner Loop Header: Depth=1
	v_mov_b32_e32 v0, 1
	s_and_saveexec_b64 s[10:11], s[4:5]
	s_cbranch_execz .LBB6_572
; %bb.576:                              ;   in Loop: Header=BB6_575 Depth=1
	global_load_dword v0, v[8:9], off offset:20 glc
	s_waitcnt vmcnt(0)
	buffer_wbinvl1_vol
	v_and_b32_e32 v0, 1, v0
	s_branch .LBB6_572
.LBB6_577:
	s_and_saveexec_b64 s[10:11], s[4:5]
	s_cbranch_execz .LBB6_580
; %bb.578:
	v_mov_b32_e32 v6, 0
	global_load_dwordx2 v[0:1], v6, s[6:7] offset:40
	global_load_dwordx2 v[9:10], v6, s[6:7] offset:24 glc
	global_load_dwordx2 v[2:3], v6, s[6:7]
	s_waitcnt vmcnt(2)
	v_readfirstlane_b32 s12, v0
	v_readfirstlane_b32 s13, v1
	s_add_u32 s14, s12, 1
	s_addc_u32 s15, s13, 0
	s_add_u32 s4, s14, s8
	s_addc_u32 s5, s15, s9
	s_cmp_eq_u64 s[4:5], 0
	s_cselect_b32 s5, s15, s5
	s_cselect_b32 s4, s14, s4
	s_and_b64 s[8:9], s[4:5], s[12:13]
	s_mul_i32 s9, s9, 24
	s_mul_hi_u32 s12, s8, 24
	s_mul_i32 s8, s8, 24
	s_add_i32 s9, s12, s9
	v_mov_b32_e32 v0, s9
	s_waitcnt vmcnt(0)
	v_add_co_u32_e32 v4, vcc, s8, v2
	v_addc_co_u32_e32 v5, vcc, v3, v0, vcc
	v_mov_b32_e32 v7, s4
	global_store_dwordx2 v[4:5], v[9:10], off
	v_mov_b32_e32 v8, s5
	s_waitcnt vmcnt(0)
	global_atomic_cmpswap_x2 v[2:3], v6, v[7:10], s[6:7] offset:24 glc
	s_mov_b64 s[8:9], 0
	s_waitcnt vmcnt(0)
	v_cmp_ne_u64_e32 vcc, v[2:3], v[9:10]
	s_and_b64 exec, exec, vcc
	s_cbranch_execz .LBB6_580
.LBB6_579:                              ; =>This Inner Loop Header: Depth=1
	s_sleep 1
	global_store_dwordx2 v[4:5], v[2:3], off
	v_mov_b32_e32 v0, s4
	v_mov_b32_e32 v1, s5
	s_waitcnt vmcnt(0)
	global_atomic_cmpswap_x2 v[0:1], v6, v[0:3], s[6:7] offset:24 glc
	s_waitcnt vmcnt(0)
	v_cmp_eq_u64_e32 vcc, v[0:1], v[2:3]
	v_mov_b32_e32 v3, v1
	s_or_b64 s[8:9], vcc, s[8:9]
	v_mov_b32_e32 v2, v0
	s_andn2_b64 exec, exec, s[8:9]
	s_cbranch_execnz .LBB6_579
.LBB6_580:
	s_or_b64 exec, exec, s[10:11]
.LBB6_581:
	s_getpc_b64 s[4:5]
	s_add_u32 s4, s4, .str.29@rel32@lo+4
	s_addc_u32 s5, s5, .str.29@rel32@hi+12
	s_getpc_b64 s[6:7]
	s_add_u32 s6, s6, .str.19@rel32@lo+4
	s_addc_u32 s7, s7, .str.19@rel32@hi+12
	s_getpc_b64 s[10:11]
	s_add_u32 s10, s10, __PRETTY_FUNCTION__._ZN7VecsMemIjLi8192EE5fetchEi@rel32@lo+4
	s_addc_u32 s11, s11, __PRETTY_FUNCTION__._ZN7VecsMemIjLi8192EE5fetchEi@rel32@hi+12
	s_getpc_b64 s[12:13]
	s_add_u32 s12, s12, __assert_fail@rel32@lo+4
	s_addc_u32 s13, s13, __assert_fail@rel32@hi+12
	s_mov_b64 s[8:9], s[64:65]
	s_waitcnt vmcnt(2)
	v_mov_b32_e32 v0, s4
	v_mov_b32_e32 v1, s5
	;; [unrolled: 1-line block ×6, first 2 shown]
	s_waitcnt vmcnt(0)
	v_mov_b32_e32 v6, s11
	s_swappc_b64 s[30:31], s[12:13]
	buffer_load_dword v15, off, s[0:3], s33 offset:168 ; 4-byte Folded Reload
	buffer_load_dword v16, off, s[0:3], s33 offset:172 ; 4-byte Folded Reload
	v_mov_b32_e32 v19, v60
	s_or_b64 s[4:5], s[40:41], exec
	v_mov_b32_e32 v20, v61
.LBB6_582:
	s_or_b64 exec, exec, s[26:27]
	s_andn2_b64 s[6:7], s[40:41], exec
	s_and_b64 s[4:5], s[4:5], exec
	s_or_b64 s[26:27], s[6:7], s[4:5]
	s_orn2_b64 s[4:5], s[58:59], exec
.LBB6_583:
	s_or_b64 exec, exec, s[56:57]
	s_mov_b64 s[6:7], 0
                                        ; implicit-def: $vgpr41
	s_and_saveexec_b64 s[90:91], s[4:5]
	s_cbranch_execz .LBB6_1867
; %bb.584:
	v_mov_b32_e32 v1, 0
	s_mov_b32 s15, 0
	s_mov_b64 s[12:13], 0
	v_mov_b32_e32 v60, v1
	s_mov_b32 s16, s15
	v_mov_b32_e32 v6, 0
	s_waitcnt vmcnt(0)
	buffer_store_dword v16, off, s[0:3], s33 offset:132
	buffer_store_dword v15, off, s[0:3], s33 offset:128
                                        ; implicit-def: $sgpr10_sgpr11
	s_branch .LBB6_586
.LBB6_585:                              ;   in Loop: Header=BB6_586 Depth=1
	s_or_b64 exec, exec, s[18:19]
	s_xor_b64 s[4:5], s[8:9], -1
	s_and_b64 s[6:7], exec, s[6:7]
	s_or_b64 s[12:13], s[6:7], s[12:13]
	s_andn2_b64 s[6:7], s[10:11], exec
	s_and_b64 s[4:5], s[4:5], exec
	s_or_b64 s[10:11], s[6:7], s[4:5]
	s_andn2_b64 exec, exec, s[12:13]
	s_cbranch_execz .LBB6_626
.LBB6_586:                              ; =>This Loop Header: Depth=1
                                        ;     Child Loop BB6_589 Depth 2
                                        ;     Child Loop BB6_594 Depth 2
                                        ;       Child Loop BB6_598 Depth 3
                                        ;     Child Loop BB6_607 Depth 2
                                        ;       Child Loop BB6_611 Depth 3
	s_mov_b32 s17, s15
	s_lshl_b64 s[4:5], s[16:17], 2
	v_mov_b32_e32 v0, s5
	v_add_co_u32_e32 v2, vcc, s4, v58
	v_addc_co_u32_e32 v3, vcc, v59, v0, vcc
	flat_load_dword v0, v[2:3]
	s_mov_b64 s[4:5], -1
	s_waitcnt vmcnt(0) lgkmcnt(0)
	v_cmp_lt_i32_e32 vcc, -1, v0
	s_and_saveexec_b64 s[18:19], vcc
	s_cbranch_execz .LBB6_624
; %bb.587:                              ;   in Loop: Header=BB6_586 Depth=1
	v_mov_b32_e32 v4, v19
	s_mov_b32 s14, 0
	s_mov_b64 s[4:5], 0
	v_mov_b32_e32 v5, v20
                                        ; implicit-def: $sgpr6_sgpr7
	s_branch .LBB6_589
.LBB6_588:                              ;   in Loop: Header=BB6_589 Depth=2
	s_or_b64 exec, exec, s[8:9]
	s_and_b64 s[8:9], exec, s[6:7]
	s_or_b64 s[4:5], s[8:9], s[4:5]
	s_andn2_b64 exec, exec, s[4:5]
	s_cbranch_execz .LBB6_591
.LBB6_589:                              ;   Parent Loop BB6_586 Depth=1
                                        ; =>  This Inner Loop Header: Depth=2
	flat_load_dword v8, v[4:5]
	v_mov_b32_e32 v7, s14
	s_or_b64 s[6:7], s[6:7], exec
	s_waitcnt vmcnt(0) lgkmcnt(0)
	v_and_b32_e32 v9, v8, v0
	v_cmp_ne_u32_e32 vcc, v9, v8
	s_and_saveexec_b64 s[8:9], vcc
	s_cbranch_execz .LBB6_588
; %bb.590:                              ;   in Loop: Header=BB6_589 Depth=2
	v_add_co_u32_e32 v4, vcc, 4, v4
	s_add_i32 s14, s14, 1
	v_addc_co_u32_e32 v5, vcc, 0, v5, vcc
	v_cmp_eq_u32_e32 vcc, s14, v55
	s_andn2_b64 s[6:7], s[6:7], exec
	s_and_b64 s[20:21], vcc, exec
	s_or_b64 s[6:7], s[6:7], s[20:21]
	v_mov_b32_e32 v7, v55
	s_branch .LBB6_588
.LBB6_591:                              ;   in Loop: Header=BB6_586 Depth=1
	s_or_b64 exec, exec, s[4:5]
	v_cmp_ne_u32_e32 vcc, v7, v55
	s_mov_b64 s[4:5], -1
	s_and_saveexec_b64 s[20:21], vcc
	s_cbranch_execz .LBB6_623
; %bb.592:                              ;   in Loop: Header=BB6_586 Depth=1
	v_bfi_b32 v8, v8, 0, v0
	s_mov_b32 s14, 0
	v_cmp_lt_i32_e32 vcc, 0, v56
	s_mov_b64 s[22:23], 0
	s_branch .LBB6_594
.LBB6_593:                              ;   in Loop: Header=BB6_594 Depth=2
	s_or_b64 exec, exec, s[8:9]
	s_and_b64 s[4:5], exec, s[24:25]
	s_or_b64 s[22:23], s[4:5], s[22:23]
	s_andn2_b64 exec, exec, s[22:23]
	s_cbranch_execz .LBB6_604
.LBB6_594:                              ;   Parent Loop BB6_586 Depth=1
                                        ; =>  This Loop Header: Depth=2
                                        ;       Child Loop BB6_598 Depth 3
	v_cmp_ne_u32_e64 s[4:5], s14, v7
	s_mov_b64 s[24:25], -1
	s_mov_b64 s[6:7], -1
	s_and_saveexec_b64 s[56:57], s[4:5]
	s_cbranch_execz .LBB6_602
; %bb.595:                              ;   in Loop: Header=BB6_594 Depth=2
	v_mov_b32_e32 v11, 0
	s_and_saveexec_b64 s[58:59], vcc
	s_cbranch_execz .LBB6_601
; %bb.596:                              ;   in Loop: Header=BB6_594 Depth=2
	s_lshl_b64 s[4:5], s[14:15], 2
	v_mov_b32_e32 v5, s5
	v_add_co_u32_e64 v4, s[4:5], s4, v19
	v_addc_co_u32_e64 v5, s[4:5], v20, v5, s[4:5]
	flat_load_dword v9, v[4:5]
	v_mov_b32_e32 v4, v58
	s_mov_b32 s17, 0
	s_mov_b64 s[92:93], 0
	v_mov_b32_e32 v5, v59
                                        ; implicit-def: $sgpr94_sgpr95
	s_waitcnt vmcnt(0) lgkmcnt(0)
	v_not_b32_e32 v10, v9
	s_branch .LBB6_598
.LBB6_597:                              ;   in Loop: Header=BB6_598 Depth=3
	s_or_b64 exec, exec, s[6:7]
	s_and_b64 s[4:5], exec, s[94:95]
	s_or_b64 s[92:93], s[4:5], s[92:93]
	s_andn2_b64 exec, exec, s[92:93]
	s_cbranch_execz .LBB6_600
.LBB6_598:                              ;   Parent Loop BB6_586 Depth=1
                                        ;     Parent Loop BB6_594 Depth=2
                                        ; =>    This Inner Loop Header: Depth=3
	flat_load_dword v6, v[4:5]
	v_mov_b32_e32 v11, s17
	s_or_b64 s[94:95], s[94:95], exec
	s_waitcnt vmcnt(0) lgkmcnt(0)
	v_and_b32_e32 v12, v6, v9
	v_and_b32_e32 v13, v6, v10
	v_cmp_ne_u32_e64 s[6:7], v12, v9
	v_cmp_ne_u32_e64 s[8:9], v8, v13
	v_cmp_gt_i32_e64 s[4:5], 0, v6
	s_or_b64 s[6:7], s[6:7], s[8:9]
	s_or_b64 s[4:5], s[6:7], s[4:5]
	s_and_saveexec_b64 s[6:7], s[4:5]
	s_cbranch_execz .LBB6_597
; %bb.599:                              ;   in Loop: Header=BB6_598 Depth=3
	v_add_co_u32_e64 v4, s[4:5], 4, v4
	s_add_i32 s17, s17, 1
	v_addc_co_u32_e64 v5, s[4:5], 0, v5, s[4:5]
	v_cmp_eq_u32_e64 s[4:5], s17, v56
	s_andn2_b64 s[8:9], s[94:95], exec
	s_and_b64 s[4:5], s[4:5], exec
	s_or_b64 s[94:95], s[8:9], s[4:5]
	v_mov_b32_e32 v11, v56
	s_branch .LBB6_597
.LBB6_600:                              ;   in Loop: Header=BB6_594 Depth=2
	s_or_b64 exec, exec, s[92:93]
.LBB6_601:                              ;   in Loop: Header=BB6_594 Depth=2
	s_or_b64 exec, exec, s[58:59]
	v_cmp_ne_u32_e64 s[4:5], v11, v56
	s_orn2_b64 s[6:7], s[4:5], exec
.LBB6_602:                              ;   in Loop: Header=BB6_594 Depth=2
	s_or_b64 exec, exec, s[56:57]
	v_mov_b32_e32 v4, s14
	s_and_saveexec_b64 s[8:9], s[6:7]
	s_cbranch_execz .LBB6_593
; %bb.603:                              ;   in Loop: Header=BB6_594 Depth=2
	s_add_i32 s14, s14, 1
	v_cmp_eq_u32_e64 s[4:5], s14, v55
	s_orn2_b64 s[24:25], s[4:5], exec
	v_mov_b32_e32 v4, v55
	s_branch .LBB6_593
.LBB6_604:                              ;   in Loop: Header=BB6_586 Depth=1
	s_or_b64 exec, exec, s[22:23]
	v_cmp_eq_u32_e32 vcc, v4, v55
	s_mov_b64 s[4:5], -1
	s_and_saveexec_b64 s[8:9], vcc
	s_cbranch_execz .LBB6_622
; %bb.605:                              ;   in Loop: Header=BB6_586 Depth=1
	v_ashrrev_i32_e32 v61, 31, v60
	v_lshlrev_b64 v[4:5], 2, v[60:61]
	v_add_u32_e32 v9, 1, v60
	v_add_co_u32_e32 v4, vcc, v15, v4
	v_addc_co_u32_e32 v5, vcc, v16, v5, vcc
	v_or_b32_e32 v0, 0x80000000, v0
	s_mov_b32 s14, 0
	s_mov_b64 s[24:25], 0
	buffer_store_dword v9, off, s[0:3], s33 offset:124
	flat_store_dword v[4:5], v8
	flat_store_dword v[2:3], v0
                                        ; implicit-def: $sgpr22_sgpr23
	s_branch .LBB6_607
.LBB6_606:                              ;   in Loop: Header=BB6_607 Depth=2
	s_or_b64 exec, exec, s[58:59]
	s_xor_b64 s[4:5], s[6:7], -1
	s_and_b64 s[6:7], exec, s[56:57]
	s_or_b64 s[24:25], s[6:7], s[24:25]
	s_andn2_b64 s[6:7], s[22:23], exec
	s_and_b64 s[4:5], s[4:5], exec
	s_or_b64 s[22:23], s[6:7], s[4:5]
	s_andn2_b64 exec, exec, s[24:25]
	s_cbranch_execz .LBB6_619
.LBB6_607:                              ;   Parent Loop BB6_586 Depth=1
                                        ; =>  This Loop Header: Depth=2
                                        ;       Child Loop BB6_611 Depth 3
	v_cmp_ne_u32_e32 vcc, s14, v7
	s_mov_b64 s[56:57], -1
	s_mov_b64 s[4:5], -1
	s_and_saveexec_b64 s[58:59], vcc
	s_cbranch_execz .LBB6_617
; %bb.608:                              ;   in Loop: Header=BB6_607 Depth=2
	flat_load_dword v0, v[53:54] offset:4
	v_mov_b32_e32 v4, 0
	v_mov_b32_e32 v5, 0
	s_mov_b64 s[4:5], 0
	s_waitcnt vmcnt(0) lgkmcnt(0)
	v_cmp_lt_i32_e32 vcc, 0, v0
	s_and_saveexec_b64 s[92:93], vcc
	s_cbranch_execz .LBB6_614
; %bb.609:                              ;   in Loop: Header=BB6_607 Depth=2
	s_lshl_b64 s[4:5], s[14:15], 2
	v_mov_b32_e32 v3, s5
	v_add_co_u32_e32 v2, vcc, s4, v19
	v_addc_co_u32_e32 v3, vcc, v20, v3, vcc
	flat_load_dword v10, v[2:3]
	v_mov_b32_e32 v2, v58
	s_mov_b64 s[94:95], 0
	v_mov_b32_e32 v3, v59
	s_mov_b64 s[38:39], 0
                                        ; implicit-def: $sgpr30_sgpr31
                                        ; implicit-def: $sgpr36_sgpr37
                                        ; implicit-def: $sgpr34_sgpr35
	s_waitcnt vmcnt(0) lgkmcnt(0)
	v_not_b32_e32 v11, v10
	s_branch .LBB6_611
.LBB6_610:                              ;   in Loop: Header=BB6_611 Depth=3
	s_or_b64 exec, exec, s[4:5]
	s_and_b64 s[4:5], exec, s[36:37]
	s_or_b64 s[94:95], s[4:5], s[94:95]
	s_andn2_b64 s[4:5], s[30:31], exec
	s_and_b64 s[6:7], s[34:35], exec
	s_or_b64 s[30:31], s[4:5], s[6:7]
	s_andn2_b64 exec, exec, s[94:95]
	s_cbranch_execz .LBB6_613
.LBB6_611:                              ;   Parent Loop BB6_586 Depth=1
                                        ;     Parent Loop BB6_607 Depth=2
                                        ; =>    This Inner Loop Header: Depth=3
	flat_load_dword v6, v[2:3]
	v_mov_b32_e32 v4, s38
	v_mov_b32_e32 v5, s39
	s_or_b64 s[34:35], s[34:35], exec
	s_or_b64 s[36:37], s[36:37], exec
	s_waitcnt vmcnt(0) lgkmcnt(0)
	v_and_b32_e32 v12, v6, v10
	v_and_b32_e32 v13, v6, v11
	v_cmp_ne_u32_e64 s[4:5], v12, v10
	v_cmp_ne_u32_e64 s[6:7], v8, v13
	v_cmp_gt_i32_e32 vcc, 0, v6
	s_or_b64 s[4:5], s[4:5], s[6:7]
	s_or_b64 s[6:7], s[4:5], vcc
	s_and_saveexec_b64 s[4:5], s[6:7]
	s_cbranch_execz .LBB6_610
; %bb.612:                              ;   in Loop: Header=BB6_611 Depth=3
	v_add_co_u32_e32 v2, vcc, 4, v2
	s_add_u32 s38, s38, 1
	v_addc_co_u32_e32 v3, vcc, 0, v3, vcc
	v_cmp_eq_u32_e32 vcc, s38, v0
	s_addc_u32 s39, s39, 0
	s_andn2_b64 s[6:7], s[36:37], exec
	s_and_b64 vcc, vcc, exec
	v_mov_b32_e32 v5, v1
	s_andn2_b64 s[34:35], s[34:35], exec
	s_or_b64 s[36:37], s[6:7], vcc
	v_mov_b32_e32 v4, v0
	s_branch .LBB6_610
.LBB6_613:                              ;   in Loop: Header=BB6_607 Depth=2
	s_or_b64 exec, exec, s[94:95]
	s_and_b64 s[4:5], s[30:31], exec
.LBB6_614:                              ;   in Loop: Header=BB6_607 Depth=2
	s_or_b64 exec, exec, s[92:93]
	s_mov_b64 s[6:7], 0
	s_and_saveexec_b64 s[92:93], s[4:5]
	s_cbranch_execz .LBB6_616
; %bb.615:                              ;   in Loop: Header=BB6_607 Depth=2
	v_lshlrev_b64 v[2:3], 2, v[4:5]
	s_mov_b64 s[6:7], exec
	v_add_co_u32_e32 v2, vcc, v58, v2
	v_or_b32_e32 v0, 0x80000000, v6
	v_addc_co_u32_e32 v3, vcc, v59, v3, vcc
	flat_store_dword v[2:3], v0
.LBB6_616:                              ;   in Loop: Header=BB6_607 Depth=2
	s_or_b64 exec, exec, s[92:93]
	s_orn2_b64 s[4:5], s[6:7], exec
.LBB6_617:                              ;   in Loop: Header=BB6_607 Depth=2
	s_or_b64 exec, exec, s[58:59]
	s_mov_b64 s[6:7], -1
	s_and_saveexec_b64 s[58:59], s[4:5]
	s_cbranch_execz .LBB6_606
; %bb.618:                              ;   in Loop: Header=BB6_607 Depth=2
	s_add_i32 s14, s14, 1
	v_cmp_eq_u32_e32 vcc, s14, v55
	s_xor_b64 s[6:7], exec, -1
	s_orn2_b64 s[56:57], vcc, exec
	s_branch .LBB6_606
.LBB6_619:                              ;   in Loop: Header=BB6_586 Depth=1
	s_or_b64 exec, exec, s[24:25]
	s_mov_b64 s[4:5], 0
                                        ; implicit-def: $vgpr56
	s_and_saveexec_b64 s[6:7], s[22:23]
	s_xor_b64 s[6:7], exec, s[6:7]
	s_cbranch_execz .LBB6_621
; %bb.620:                              ;   in Loop: Header=BB6_586 Depth=1
	flat_load_dword v56, v[53:54] offset:4
	s_mov_b64 s[4:5], exec
.LBB6_621:                              ;   in Loop: Header=BB6_586 Depth=1
	s_or_b64 exec, exec, s[6:7]
	s_orn2_b64 s[4:5], s[4:5], exec
	v_mov_b32_e32 v60, v9
.LBB6_622:                              ;   in Loop: Header=BB6_586 Depth=1
	s_or_b64 exec, exec, s[8:9]
	s_orn2_b64 s[4:5], s[4:5], exec
.LBB6_623:                              ;   in Loop: Header=BB6_586 Depth=1
	s_or_b64 exec, exec, s[20:21]
	s_orn2_b64 s[4:5], s[4:5], exec
.LBB6_624:                              ;   in Loop: Header=BB6_586 Depth=1
	s_or_b64 exec, exec, s[18:19]
	s_mov_b64 s[6:7], -1
	s_mov_b64 s[8:9], -1
	s_and_saveexec_b64 s[18:19], s[4:5]
	s_cbranch_execz .LBB6_585
; %bb.625:                              ;   in Loop: Header=BB6_586 Depth=1
	s_add_i32 s16, s16, 1
	s_waitcnt vmcnt(0) lgkmcnt(0)
	v_cmp_ge_i32_e32 vcc, s16, v56
	s_xor_b64 s[8:9], exec, -1
	s_orn2_b64 s[6:7], vcc, exec
	s_branch .LBB6_585
.LBB6_626:
	s_or_b64 exec, exec, s[12:13]
	s_mov_b64 s[56:57], 0
	s_mov_b64 s[58:59], s[26:27]
                                        ; implicit-def: $vgpr41
	s_and_saveexec_b64 s[4:5], s[10:11]
	s_xor_b64 s[92:93], exec, s[4:5]
	s_cbranch_execz .LBB6_1864
; %bb.627:
	v_mul_lo_u32 v46, v60, v55
	v_mov_b32_e32 v17, 0
	v_mov_b32_e32 v0, 0
	s_mov_b64 s[4:5], -1
	s_waitcnt vmcnt(0) lgkmcnt(0)
	v_sub_u32_e32 v6, v56, v46
	v_cmp_lt_i32_e32 vcc, 0, v6
	v_mov_b32_e32 v18, 0
	s_mov_b64 s[56:57], s[26:27]
	buffer_store_dword v0, off, s[0:3], s33 offset:156
	s_and_saveexec_b64 s[58:59], vcc
	s_cbranch_execz .LBB6_779
; %bb.628:
	flat_load_dword v0, v[44:45]
	s_movk_i32 s4, 0x2001
	v_mov_b32_e32 v17, 0
	v_mov_b32_e32 v18, 0
	s_mov_b64 s[94:95], 0
	s_waitcnt vmcnt(0) lgkmcnt(0)
	v_add_u32_e32 v0, v0, v6
	v_cmp_gt_i32_e32 vcc, s4, v0
	s_and_saveexec_b64 s[4:5], vcc
	s_xor_b64 s[4:5], exec, s[4:5]
	s_cbranch_execz .LBB6_630
; %bb.629:
	v_ashrrev_i32_e32 v1, 31, v0
	flat_store_dword v[44:45], v0
	v_lshlrev_b64 v[0:1], 2, v[0:1]
	v_mov_b32_e32 v7, 0
	v_add_co_u32_e32 v2, vcc, v44, v0
	v_addc_co_u32_e32 v3, vcc, v45, v1, vcc
	v_lshlrev_b64 v[0:1], 2, v[6:7]
	s_mov_b64 s[94:95], exec
	v_sub_co_u32_e32 v0, vcc, v2, v0
	v_subb_co_u32_e32 v1, vcc, v3, v1, vcc
	v_add_co_u32_e32 v17, vcc, 4, v0
	v_addc_co_u32_e32 v18, vcc, 0, v1, vcc
.LBB6_630:
	s_or_saveexec_b64 s[56:57], s[4:5]
	s_mov_b64 s[4:5], s[26:27]
	s_xor_b64 exec, exec, s[56:57]
	s_cbranch_execz .LBB6_778
; %bb.631:
	s_load_dwordx2 s[6:7], s[64:65], 0x50
	v_mbcnt_lo_u32_b32 v0, -1, 0
	v_mbcnt_hi_u32_b32 v30, -1, v0
	v_mov_b32_e32 v41, v6
	v_readfirstlane_b32 s4, v30
	v_mov_b32_e32 v5, 0
	v_mov_b32_e32 v6, 0
	v_cmp_eq_u32_e64 s[4:5], s4, v30
	s_and_saveexec_b64 s[8:9], s[4:5]
	s_cbranch_execz .LBB6_637
; %bb.632:
	v_mov_b32_e32 v0, 0
	s_waitcnt lgkmcnt(0)
	global_load_dwordx2 v[3:4], v0, s[6:7] offset:24 glc
	s_waitcnt vmcnt(0)
	buffer_wbinvl1_vol
	global_load_dwordx2 v[1:2], v0, s[6:7] offset:40
	global_load_dwordx2 v[5:6], v0, s[6:7]
	s_waitcnt vmcnt(1)
	v_and_b32_e32 v1, v1, v3
	v_and_b32_e32 v2, v2, v4
	v_mul_lo_u32 v2, v2, 24
	v_mul_hi_u32 v7, v1, 24
	v_mul_lo_u32 v1, v1, 24
	v_add_u32_e32 v2, v7, v2
	s_waitcnt vmcnt(0)
	v_add_co_u32_e32 v1, vcc, v5, v1
	v_addc_co_u32_e32 v2, vcc, v6, v2, vcc
	global_load_dwordx2 v[1:2], v[1:2], off glc
	s_waitcnt vmcnt(0)
	global_atomic_cmpswap_x2 v[5:6], v0, v[1:4], s[6:7] offset:24 glc
	s_waitcnt vmcnt(0)
	buffer_wbinvl1_vol
	v_cmp_ne_u64_e32 vcc, v[5:6], v[3:4]
	s_and_saveexec_b64 s[10:11], vcc
	s_cbranch_execz .LBB6_636
; %bb.633:
	s_mov_b64 s[12:13], 0
.LBB6_634:                              ; =>This Inner Loop Header: Depth=1
	s_sleep 1
	global_load_dwordx2 v[1:2], v0, s[6:7] offset:40
	global_load_dwordx2 v[7:8], v0, s[6:7]
	v_mov_b32_e32 v3, v5
	v_mov_b32_e32 v4, v6
	s_waitcnt vmcnt(1)
	v_and_b32_e32 v1, v1, v3
	s_waitcnt vmcnt(0)
	v_mad_u64_u32 v[5:6], s[14:15], v1, 24, v[7:8]
	v_and_b32_e32 v2, v2, v4
	v_mov_b32_e32 v1, v6
	v_mad_u64_u32 v[1:2], s[14:15], v2, 24, v[1:2]
	v_mov_b32_e32 v6, v1
	global_load_dwordx2 v[1:2], v[5:6], off glc
	s_waitcnt vmcnt(0)
	global_atomic_cmpswap_x2 v[5:6], v0, v[1:4], s[6:7] offset:24 glc
	s_waitcnt vmcnt(0)
	buffer_wbinvl1_vol
	v_cmp_eq_u64_e32 vcc, v[5:6], v[3:4]
	s_or_b64 s[12:13], vcc, s[12:13]
	s_andn2_b64 exec, exec, s[12:13]
	s_cbranch_execnz .LBB6_634
; %bb.635:
	s_or_b64 exec, exec, s[12:13]
.LBB6_636:
	s_or_b64 exec, exec, s[10:11]
.LBB6_637:
	s_or_b64 exec, exec, s[8:9]
	v_mov_b32_e32 v4, 0
	s_waitcnt lgkmcnt(0)
	global_load_dwordx2 v[7:8], v4, s[6:7] offset:40
	global_load_dwordx4 v[0:3], v4, s[6:7]
	v_readfirstlane_b32 s9, v6
	v_readfirstlane_b32 s8, v5
	s_mov_b64 s[10:11], exec
	s_waitcnt vmcnt(0)
	v_readfirstlane_b32 s12, v7
	v_readfirstlane_b32 s13, v8
	s_and_b64 s[12:13], s[12:13], s[8:9]
	s_mul_i32 s14, s13, 24
	s_mul_hi_u32 s15, s12, 24
	s_mul_i32 s16, s12, 24
	s_add_i32 s14, s15, s14
	v_mov_b32_e32 v5, s14
	v_add_co_u32_e32 v7, vcc, s16, v0
	v_addc_co_u32_e32 v8, vcc, v1, v5, vcc
	s_and_saveexec_b64 s[14:15], s[4:5]
	s_cbranch_execz .LBB6_639
; %bb.638:
	v_mov_b32_e32 v9, s10
	v_mov_b32_e32 v10, s11
	;; [unrolled: 1-line block ×4, first 2 shown]
	global_store_dwordx4 v[7:8], v[9:12], off offset:8
.LBB6_639:
	s_or_b64 exec, exec, s[14:15]
	s_lshl_b64 s[10:11], s[12:13], 12
	v_mov_b32_e32 v5, s11
	v_add_co_u32_e32 v2, vcc, s10, v2
	v_addc_co_u32_e32 v11, vcc, v3, v5, vcc
	v_lshlrev_b32_e32 v29, 6, v30
	s_mov_b32 s12, 0
	v_mov_b32_e32 v3, 33
	v_mov_b32_e32 v5, v4
	;; [unrolled: 1-line block ×3, first 2 shown]
	v_readfirstlane_b32 s10, v2
	v_readfirstlane_b32 s11, v11
	v_add_co_u32_e32 v9, vcc, v2, v29
	s_mov_b32 s13, s12
	s_mov_b32 s14, s12
	;; [unrolled: 1-line block ×3, first 2 shown]
	s_nop 0
	global_store_dwordx4 v29, v[3:6], s[10:11]
	v_mov_b32_e32 v2, s12
	v_addc_co_u32_e32 v10, vcc, 0, v11, vcc
	v_mov_b32_e32 v3, s13
	v_mov_b32_e32 v4, s14
	;; [unrolled: 1-line block ×3, first 2 shown]
	global_store_dwordx4 v29, v[2:5], s[10:11] offset:16
	global_store_dwordx4 v29, v[2:5], s[10:11] offset:32
	;; [unrolled: 1-line block ×3, first 2 shown]
	s_and_saveexec_b64 s[10:11], s[4:5]
	s_cbranch_execz .LBB6_647
; %bb.640:
	v_mov_b32_e32 v6, 0
	global_load_dwordx2 v[13:14], v6, s[6:7] offset:32 glc
	global_load_dwordx2 v[2:3], v6, s[6:7] offset:40
	v_mov_b32_e32 v11, s8
	v_mov_b32_e32 v12, s9
	s_waitcnt vmcnt(0)
	v_and_b32_e32 v2, s8, v2
	v_and_b32_e32 v3, s9, v3
	v_mul_lo_u32 v3, v3, 24
	v_mul_hi_u32 v4, v2, 24
	v_mul_lo_u32 v2, v2, 24
	v_add_u32_e32 v3, v4, v3
	v_add_co_u32_e32 v4, vcc, v0, v2
	v_addc_co_u32_e32 v5, vcc, v1, v3, vcc
	global_store_dwordx2 v[4:5], v[13:14], off
	s_waitcnt vmcnt(0)
	global_atomic_cmpswap_x2 v[2:3], v6, v[11:14], s[6:7] offset:32 glc
	s_waitcnt vmcnt(0)
	v_cmp_ne_u64_e32 vcc, v[2:3], v[13:14]
	s_and_saveexec_b64 s[12:13], vcc
	s_cbranch_execz .LBB6_643
; %bb.641:
	s_mov_b64 s[14:15], 0
.LBB6_642:                              ; =>This Inner Loop Header: Depth=1
	s_sleep 1
	global_store_dwordx2 v[4:5], v[2:3], off
	v_mov_b32_e32 v0, s8
	v_mov_b32_e32 v1, s9
	s_waitcnt vmcnt(0)
	global_atomic_cmpswap_x2 v[0:1], v6, v[0:3], s[6:7] offset:32 glc
	s_waitcnt vmcnt(0)
	v_cmp_eq_u64_e32 vcc, v[0:1], v[2:3]
	v_mov_b32_e32 v3, v1
	s_or_b64 s[14:15], vcc, s[14:15]
	v_mov_b32_e32 v2, v0
	s_andn2_b64 exec, exec, s[14:15]
	s_cbranch_execnz .LBB6_642
.LBB6_643:
	s_or_b64 exec, exec, s[12:13]
	v_mov_b32_e32 v3, 0
	global_load_dwordx2 v[0:1], v3, s[6:7] offset:16
	s_mov_b64 s[12:13], exec
	v_mbcnt_lo_u32_b32 v2, s12, 0
	v_mbcnt_hi_u32_b32 v2, s13, v2
	v_cmp_eq_u32_e32 vcc, 0, v2
	s_and_saveexec_b64 s[14:15], vcc
	s_cbranch_execz .LBB6_645
; %bb.644:
	s_bcnt1_i32_b64 s12, s[12:13]
	v_mov_b32_e32 v2, s12
	s_waitcnt vmcnt(0)
	global_atomic_add_x2 v[0:1], v[2:3], off offset:8
.LBB6_645:
	s_or_b64 exec, exec, s[14:15]
	s_waitcnt vmcnt(0)
	global_load_dwordx2 v[2:3], v[0:1], off offset:16
	s_waitcnt vmcnt(0)
	v_cmp_eq_u64_e32 vcc, 0, v[2:3]
	s_cbranch_vccnz .LBB6_647
; %bb.646:
	global_load_dword v0, v[0:1], off offset:24
	v_mov_b32_e32 v1, 0
	s_waitcnt vmcnt(0)
	v_readfirstlane_b32 s12, v0
	s_and_b32 m0, s12, 0xffffff
	global_store_dwordx2 v[2:3], v[0:1], off
	s_sendmsg sendmsg(MSG_INTERRUPT)
.LBB6_647:
	s_or_b64 exec, exec, s[10:11]
	s_branch .LBB6_651
.LBB6_648:                              ;   in Loop: Header=BB6_651 Depth=1
	s_or_b64 exec, exec, s[10:11]
	v_readfirstlane_b32 s10, v0
	s_cmp_eq_u32 s10, 0
	s_cbranch_scc1 .LBB6_650
; %bb.649:                              ;   in Loop: Header=BB6_651 Depth=1
	s_sleep 1
	s_cbranch_execnz .LBB6_651
	s_branch .LBB6_653
.LBB6_650:
	s_branch .LBB6_653
.LBB6_651:                              ; =>This Inner Loop Header: Depth=1
	v_mov_b32_e32 v0, 1
	s_and_saveexec_b64 s[10:11], s[4:5]
	s_cbranch_execz .LBB6_648
; %bb.652:                              ;   in Loop: Header=BB6_651 Depth=1
	global_load_dword v0, v[7:8], off offset:20 glc
	s_waitcnt vmcnt(0)
	buffer_wbinvl1_vol
	v_and_b32_e32 v0, 1, v0
	s_branch .LBB6_648
.LBB6_653:
	global_load_dwordx2 v[0:1], v[9:10], off
	s_and_saveexec_b64 s[10:11], s[4:5]
	s_cbranch_execz .LBB6_656
; %bb.654:
	v_mov_b32_e32 v8, 0
	global_load_dwordx2 v[2:3], v8, s[6:7] offset:40
	global_load_dwordx2 v[11:12], v8, s[6:7] offset:24 glc
	global_load_dwordx2 v[4:5], v8, s[6:7]
	s_waitcnt vmcnt(2)
	v_readfirstlane_b32 s12, v2
	v_readfirstlane_b32 s13, v3
	s_add_u32 s14, s12, 1
	s_addc_u32 s15, s13, 0
	s_add_u32 s4, s14, s8
	s_addc_u32 s5, s15, s9
	s_cmp_eq_u64 s[4:5], 0
	s_cselect_b32 s5, s15, s5
	s_cselect_b32 s4, s14, s4
	s_and_b64 s[8:9], s[4:5], s[12:13]
	s_mul_i32 s9, s9, 24
	s_mul_hi_u32 s12, s8, 24
	s_mul_i32 s8, s8, 24
	s_add_i32 s9, s12, s9
	v_mov_b32_e32 v2, s9
	s_waitcnt vmcnt(0)
	v_add_co_u32_e32 v6, vcc, s8, v4
	v_addc_co_u32_e32 v7, vcc, v5, v2, vcc
	v_mov_b32_e32 v9, s4
	global_store_dwordx2 v[6:7], v[11:12], off
	v_mov_b32_e32 v10, s5
	s_waitcnt vmcnt(0)
	global_atomic_cmpswap_x2 v[4:5], v8, v[9:12], s[6:7] offset:24 glc
	s_mov_b64 s[8:9], 0
	s_waitcnt vmcnt(0)
	v_cmp_ne_u64_e32 vcc, v[4:5], v[11:12]
	s_and_b64 exec, exec, vcc
	s_cbranch_execz .LBB6_656
.LBB6_655:                              ; =>This Inner Loop Header: Depth=1
	s_sleep 1
	global_store_dwordx2 v[6:7], v[4:5], off
	v_mov_b32_e32 v2, s4
	v_mov_b32_e32 v3, s5
	s_waitcnt vmcnt(0)
	global_atomic_cmpswap_x2 v[2:3], v8, v[2:5], s[6:7] offset:24 glc
	s_waitcnt vmcnt(0)
	v_cmp_eq_u64_e32 vcc, v[2:3], v[4:5]
	v_mov_b32_e32 v5, v3
	s_or_b64 s[8:9], vcc, s[8:9]
	v_mov_b32_e32 v4, v2
	s_andn2_b64 exec, exec, s[8:9]
	s_cbranch_execnz .LBB6_655
.LBB6_656:
	s_or_b64 exec, exec, s[10:11]
	s_getpc_b64 s[8:9]
	s_add_u32 s8, s8, .str.28@rel32@lo+4
	s_addc_u32 s9, s9, .str.28@rel32@hi+12
	s_cmp_lg_u64 s[8:9], 0
	buffer_store_dword v17, off, s[0:3], s33 offset:176 ; 4-byte Folded Spill
	s_nop 0
	buffer_store_dword v18, off, s[0:3], s33 offset:180 ; 4-byte Folded Spill
	buffer_store_dword v15, off, s[0:3], s33 offset:168 ; 4-byte Folded Spill
	s_nop 0
	buffer_store_dword v16, off, s[0:3], s33 offset:172 ; 4-byte Folded Spill
	s_cbranch_scc0 .LBB6_749
; %bb.657:
	s_waitcnt vmcnt(4)
	v_and_b32_e32 v6, -3, v0
	v_mov_b32_e32 v7, v1
	s_mov_b64 s[10:11], 35
	v_mov_b32_e32 v26, 0
	v_mov_b32_e32 v4, 2
	;; [unrolled: 1-line block ×3, first 2 shown]
	s_branch .LBB6_659
.LBB6_658:                              ;   in Loop: Header=BB6_659 Depth=1
	s_or_b64 exec, exec, s[16:17]
	s_sub_u32 s10, s10, s12
	s_subb_u32 s11, s11, s13
	s_add_u32 s8, s8, s12
	s_addc_u32 s9, s9, s13
	s_cmp_lg_u64 s[10:11], 0
	s_cbranch_scc0 .LBB6_748
.LBB6_659:                              ; =>This Loop Header: Depth=1
                                        ;     Child Loop BB6_662 Depth 2
                                        ;     Child Loop BB6_671 Depth 2
	;; [unrolled: 1-line block ×11, first 2 shown]
	v_cmp_lt_u64_e64 s[4:5], s[10:11], 56
	v_cmp_gt_u64_e64 s[14:15], s[10:11], 7
	s_and_b64 s[4:5], s[4:5], exec
	s_cselect_b32 s13, s11, 0
	s_cselect_b32 s12, s10, 56
	s_add_u32 s4, s8, 8
	s_addc_u32 s5, s9, 0
	s_and_b64 vcc, exec, s[14:15]
	s_cbranch_vccnz .LBB6_663
; %bb.660:                              ;   in Loop: Header=BB6_659 Depth=1
	s_cmp_eq_u64 s[10:11], 0
	s_cbranch_scc1 .LBB6_664
; %bb.661:                              ;   in Loop: Header=BB6_659 Depth=1
	s_waitcnt vmcnt(0)
	v_mov_b32_e32 v8, 0
	s_lshl_b64 s[4:5], s[12:13], 3
	s_mov_b64 s[14:15], 0
	v_mov_b32_e32 v9, 0
	s_mov_b64 s[16:17], s[8:9]
.LBB6_662:                              ;   Parent Loop BB6_659 Depth=1
                                        ; =>  This Inner Loop Header: Depth=2
	global_load_ubyte v2, v26, s[16:17]
	s_waitcnt vmcnt(0)
	v_and_b32_e32 v25, 0xffff, v2
	v_lshlrev_b64 v[2:3], s14, v[25:26]
	s_add_u32 s14, s14, 8
	s_addc_u32 s15, s15, 0
	s_add_u32 s16, s16, 1
	s_addc_u32 s17, s17, 0
	v_or_b32_e32 v8, v2, v8
	s_cmp_lg_u32 s4, s14
	v_or_b32_e32 v9, v3, v9
	s_cbranch_scc1 .LBB6_662
	s_branch .LBB6_665
.LBB6_663:                              ;   in Loop: Header=BB6_659 Depth=1
	s_mov_b64 s[14:15], -1
	s_branch .LBB6_666
.LBB6_664:                              ;   in Loop: Header=BB6_659 Depth=1
	s_waitcnt vmcnt(0)
	v_mov_b32_e32 v8, 0
	v_mov_b32_e32 v9, 0
.LBB6_665:                              ;   in Loop: Header=BB6_659 Depth=1
	s_mov_b64 s[14:15], 0
	s_mov_b64 s[4:5], s[8:9]
.LBB6_666:                              ;   in Loop: Header=BB6_659 Depth=1
	s_andn2_b64 vcc, exec, s[14:15]
	s_mov_b32 s18, 0
	s_cbranch_vccnz .LBB6_668
; %bb.667:                              ;   in Loop: Header=BB6_659 Depth=1
	global_load_dwordx2 v[8:9], v26, s[8:9]
	s_add_i32 s18, s12, -8
.LBB6_668:                              ;   in Loop: Header=BB6_659 Depth=1
	s_add_u32 s14, s4, 8
	s_addc_u32 s15, s5, 0
	s_cmp_gt_u32 s18, 7
	s_cbranch_scc1 .LBB6_672
; %bb.669:                              ;   in Loop: Header=BB6_659 Depth=1
	s_cmp_eq_u32 s18, 0
	s_cbranch_scc1 .LBB6_673
; %bb.670:                              ;   in Loop: Header=BB6_659 Depth=1
	v_mov_b32_e32 v10, 0
	s_mov_b64 s[14:15], 0
	v_mov_b32_e32 v11, 0
	s_mov_b64 s[16:17], 0
.LBB6_671:                              ;   Parent Loop BB6_659 Depth=1
                                        ; =>  This Inner Loop Header: Depth=2
	s_add_u32 s20, s4, s16
	s_addc_u32 s21, s5, s17
	global_load_ubyte v2, v26, s[20:21]
	s_add_u32 s16, s16, 1
	s_addc_u32 s17, s17, 0
	s_waitcnt vmcnt(0)
	v_and_b32_e32 v25, 0xffff, v2
	v_lshlrev_b64 v[2:3], s14, v[25:26]
	s_add_u32 s14, s14, 8
	s_addc_u32 s15, s15, 0
	v_or_b32_e32 v10, v2, v10
	s_cmp_lg_u32 s18, s16
	v_or_b32_e32 v11, v3, v11
	s_cbranch_scc1 .LBB6_671
	s_branch .LBB6_674
.LBB6_672:                              ;   in Loop: Header=BB6_659 Depth=1
	s_mov_b64 s[16:17], -1
                                        ; implicit-def: $vgpr10_vgpr11
	s_branch .LBB6_675
.LBB6_673:                              ;   in Loop: Header=BB6_659 Depth=1
	v_mov_b32_e32 v10, 0
	v_mov_b32_e32 v11, 0
.LBB6_674:                              ;   in Loop: Header=BB6_659 Depth=1
	s_mov_b64 s[16:17], 0
	s_mov_b64 s[14:15], s[4:5]
.LBB6_675:                              ;   in Loop: Header=BB6_659 Depth=1
	s_andn2_b64 vcc, exec, s[16:17]
	s_mov_b32 s19, 0
	s_cbranch_vccnz .LBB6_677
; %bb.676:                              ;   in Loop: Header=BB6_659 Depth=1
	global_load_dwordx2 v[10:11], v26, s[4:5]
	s_add_i32 s19, s18, -8
.LBB6_677:                              ;   in Loop: Header=BB6_659 Depth=1
	s_add_u32 s4, s14, 8
	s_addc_u32 s5, s15, 0
	s_cmp_gt_u32 s19, 7
	s_cbranch_scc1 .LBB6_681
; %bb.678:                              ;   in Loop: Header=BB6_659 Depth=1
	s_cmp_eq_u32 s19, 0
	s_cbranch_scc1 .LBB6_682
; %bb.679:                              ;   in Loop: Header=BB6_659 Depth=1
	v_mov_b32_e32 v12, 0
	s_mov_b64 s[4:5], 0
	v_mov_b32_e32 v13, 0
	s_mov_b64 s[16:17], 0
.LBB6_680:                              ;   Parent Loop BB6_659 Depth=1
                                        ; =>  This Inner Loop Header: Depth=2
	s_add_u32 s20, s14, s16
	s_addc_u32 s21, s15, s17
	global_load_ubyte v2, v26, s[20:21]
	s_add_u32 s16, s16, 1
	s_addc_u32 s17, s17, 0
	s_waitcnt vmcnt(0)
	v_and_b32_e32 v25, 0xffff, v2
	v_lshlrev_b64 v[2:3], s4, v[25:26]
	s_add_u32 s4, s4, 8
	s_addc_u32 s5, s5, 0
	v_or_b32_e32 v12, v2, v12
	s_cmp_lg_u32 s19, s16
	v_or_b32_e32 v13, v3, v13
	s_cbranch_scc1 .LBB6_680
	s_branch .LBB6_683
.LBB6_681:                              ;   in Loop: Header=BB6_659 Depth=1
	s_mov_b64 s[16:17], -1
	s_branch .LBB6_684
.LBB6_682:                              ;   in Loop: Header=BB6_659 Depth=1
	v_mov_b32_e32 v12, 0
	v_mov_b32_e32 v13, 0
.LBB6_683:                              ;   in Loop: Header=BB6_659 Depth=1
	s_mov_b64 s[16:17], 0
	s_mov_b64 s[4:5], s[14:15]
.LBB6_684:                              ;   in Loop: Header=BB6_659 Depth=1
	s_andn2_b64 vcc, exec, s[16:17]
	s_mov_b32 s18, 0
	s_cbranch_vccnz .LBB6_686
; %bb.685:                              ;   in Loop: Header=BB6_659 Depth=1
	global_load_dwordx2 v[12:13], v26, s[14:15]
	s_add_i32 s18, s19, -8
.LBB6_686:                              ;   in Loop: Header=BB6_659 Depth=1
	s_add_u32 s14, s4, 8
	s_addc_u32 s15, s5, 0
	s_cmp_gt_u32 s18, 7
	s_cbranch_scc1 .LBB6_690
; %bb.687:                              ;   in Loop: Header=BB6_659 Depth=1
	s_cmp_eq_u32 s18, 0
	s_cbranch_scc1 .LBB6_691
; %bb.688:                              ;   in Loop: Header=BB6_659 Depth=1
	v_mov_b32_e32 v14, 0
	s_mov_b64 s[14:15], 0
	v_mov_b32_e32 v15, 0
	s_mov_b64 s[16:17], 0
.LBB6_689:                              ;   Parent Loop BB6_659 Depth=1
                                        ; =>  This Inner Loop Header: Depth=2
	s_add_u32 s20, s4, s16
	s_addc_u32 s21, s5, s17
	global_load_ubyte v2, v26, s[20:21]
	s_add_u32 s16, s16, 1
	s_addc_u32 s17, s17, 0
	s_waitcnt vmcnt(0)
	v_and_b32_e32 v25, 0xffff, v2
	v_lshlrev_b64 v[2:3], s14, v[25:26]
	s_add_u32 s14, s14, 8
	s_addc_u32 s15, s15, 0
	v_or_b32_e32 v14, v2, v14
	s_cmp_lg_u32 s18, s16
	v_or_b32_e32 v15, v3, v15
	s_cbranch_scc1 .LBB6_689
	s_branch .LBB6_692
.LBB6_690:                              ;   in Loop: Header=BB6_659 Depth=1
	s_mov_b64 s[16:17], -1
                                        ; implicit-def: $vgpr14_vgpr15
	s_branch .LBB6_693
.LBB6_691:                              ;   in Loop: Header=BB6_659 Depth=1
	v_mov_b32_e32 v14, 0
	v_mov_b32_e32 v15, 0
.LBB6_692:                              ;   in Loop: Header=BB6_659 Depth=1
	s_mov_b64 s[16:17], 0
	s_mov_b64 s[14:15], s[4:5]
.LBB6_693:                              ;   in Loop: Header=BB6_659 Depth=1
	s_andn2_b64 vcc, exec, s[16:17]
	s_mov_b32 s19, 0
	s_cbranch_vccnz .LBB6_695
; %bb.694:                              ;   in Loop: Header=BB6_659 Depth=1
	global_load_dwordx2 v[14:15], v26, s[4:5]
	s_add_i32 s19, s18, -8
.LBB6_695:                              ;   in Loop: Header=BB6_659 Depth=1
	s_add_u32 s4, s14, 8
	s_addc_u32 s5, s15, 0
	s_cmp_gt_u32 s19, 7
	s_cbranch_scc1 .LBB6_699
; %bb.696:                              ;   in Loop: Header=BB6_659 Depth=1
	s_cmp_eq_u32 s19, 0
	s_cbranch_scc1 .LBB6_700
; %bb.697:                              ;   in Loop: Header=BB6_659 Depth=1
	v_mov_b32_e32 v16, 0
	s_mov_b64 s[4:5], 0
	v_mov_b32_e32 v17, 0
	s_mov_b64 s[16:17], 0
.LBB6_698:                              ;   Parent Loop BB6_659 Depth=1
                                        ; =>  This Inner Loop Header: Depth=2
	s_add_u32 s20, s14, s16
	s_addc_u32 s21, s15, s17
	global_load_ubyte v2, v26, s[20:21]
	s_add_u32 s16, s16, 1
	s_addc_u32 s17, s17, 0
	s_waitcnt vmcnt(0)
	v_and_b32_e32 v25, 0xffff, v2
	v_lshlrev_b64 v[2:3], s4, v[25:26]
	s_add_u32 s4, s4, 8
	s_addc_u32 s5, s5, 0
	v_or_b32_e32 v16, v2, v16
	s_cmp_lg_u32 s19, s16
	v_or_b32_e32 v17, v3, v17
	s_cbranch_scc1 .LBB6_698
	s_branch .LBB6_701
.LBB6_699:                              ;   in Loop: Header=BB6_659 Depth=1
	s_mov_b64 s[16:17], -1
	s_branch .LBB6_702
.LBB6_700:                              ;   in Loop: Header=BB6_659 Depth=1
	v_mov_b32_e32 v16, 0
	v_mov_b32_e32 v17, 0
.LBB6_701:                              ;   in Loop: Header=BB6_659 Depth=1
	s_mov_b64 s[16:17], 0
	s_mov_b64 s[4:5], s[14:15]
.LBB6_702:                              ;   in Loop: Header=BB6_659 Depth=1
	s_andn2_b64 vcc, exec, s[16:17]
	s_mov_b32 s18, 0
	s_cbranch_vccnz .LBB6_704
; %bb.703:                              ;   in Loop: Header=BB6_659 Depth=1
	global_load_dwordx2 v[16:17], v26, s[14:15]
	s_add_i32 s18, s19, -8
.LBB6_704:                              ;   in Loop: Header=BB6_659 Depth=1
	s_add_u32 s14, s4, 8
	s_addc_u32 s15, s5, 0
	s_cmp_gt_u32 s18, 7
	s_cbranch_scc1 .LBB6_708
; %bb.705:                              ;   in Loop: Header=BB6_659 Depth=1
	s_cmp_eq_u32 s18, 0
	s_cbranch_scc1 .LBB6_709
; %bb.706:                              ;   in Loop: Header=BB6_659 Depth=1
	v_mov_b32_e32 v18, 0
	s_mov_b64 s[14:15], 0
	v_mov_b32_e32 v19, 0
	s_mov_b64 s[16:17], 0
.LBB6_707:                              ;   Parent Loop BB6_659 Depth=1
                                        ; =>  This Inner Loop Header: Depth=2
	s_add_u32 s20, s4, s16
	s_addc_u32 s21, s5, s17
	global_load_ubyte v2, v26, s[20:21]
	s_add_u32 s16, s16, 1
	s_addc_u32 s17, s17, 0
	s_waitcnt vmcnt(0)
	v_and_b32_e32 v25, 0xffff, v2
	v_lshlrev_b64 v[2:3], s14, v[25:26]
	s_add_u32 s14, s14, 8
	s_addc_u32 s15, s15, 0
	v_or_b32_e32 v18, v2, v18
	s_cmp_lg_u32 s18, s16
	v_or_b32_e32 v19, v3, v19
	s_cbranch_scc1 .LBB6_707
	s_branch .LBB6_710
.LBB6_708:                              ;   in Loop: Header=BB6_659 Depth=1
	s_mov_b64 s[16:17], -1
                                        ; implicit-def: $vgpr18_vgpr19
	s_branch .LBB6_711
.LBB6_709:                              ;   in Loop: Header=BB6_659 Depth=1
	v_mov_b32_e32 v18, 0
	v_mov_b32_e32 v19, 0
.LBB6_710:                              ;   in Loop: Header=BB6_659 Depth=1
	s_mov_b64 s[16:17], 0
	s_mov_b64 s[14:15], s[4:5]
.LBB6_711:                              ;   in Loop: Header=BB6_659 Depth=1
	s_andn2_b64 vcc, exec, s[16:17]
	s_mov_b32 s19, 0
	s_cbranch_vccnz .LBB6_713
; %bb.712:                              ;   in Loop: Header=BB6_659 Depth=1
	global_load_dwordx2 v[18:19], v26, s[4:5]
	s_add_i32 s19, s18, -8
.LBB6_713:                              ;   in Loop: Header=BB6_659 Depth=1
	s_cmp_gt_u32 s19, 7
	s_cbranch_scc1 .LBB6_717
; %bb.714:                              ;   in Loop: Header=BB6_659 Depth=1
	s_cmp_eq_u32 s19, 0
	s_cbranch_scc1 .LBB6_718
; %bb.715:                              ;   in Loop: Header=BB6_659 Depth=1
	v_mov_b32_e32 v20, 0
	s_mov_b64 s[4:5], 0
	v_mov_b32_e32 v21, 0
	s_mov_b64 s[16:17], s[14:15]
.LBB6_716:                              ;   Parent Loop BB6_659 Depth=1
                                        ; =>  This Inner Loop Header: Depth=2
	global_load_ubyte v2, v26, s[16:17]
	s_add_i32 s19, s19, -1
	s_waitcnt vmcnt(0)
	v_and_b32_e32 v25, 0xffff, v2
	v_lshlrev_b64 v[2:3], s4, v[25:26]
	s_add_u32 s4, s4, 8
	s_addc_u32 s5, s5, 0
	s_add_u32 s16, s16, 1
	s_addc_u32 s17, s17, 0
	v_or_b32_e32 v20, v2, v20
	s_cmp_lg_u32 s19, 0
	v_or_b32_e32 v21, v3, v21
	s_cbranch_scc1 .LBB6_716
	s_branch .LBB6_719
.LBB6_717:                              ;   in Loop: Header=BB6_659 Depth=1
	s_mov_b64 s[4:5], -1
	s_branch .LBB6_720
.LBB6_718:                              ;   in Loop: Header=BB6_659 Depth=1
	v_mov_b32_e32 v20, 0
	v_mov_b32_e32 v21, 0
.LBB6_719:                              ;   in Loop: Header=BB6_659 Depth=1
	s_mov_b64 s[4:5], 0
.LBB6_720:                              ;   in Loop: Header=BB6_659 Depth=1
	s_andn2_b64 vcc, exec, s[4:5]
	s_cbranch_vccnz .LBB6_722
; %bb.721:                              ;   in Loop: Header=BB6_659 Depth=1
	global_load_dwordx2 v[20:21], v26, s[14:15]
.LBB6_722:                              ;   in Loop: Header=BB6_659 Depth=1
	v_readfirstlane_b32 s4, v30
	v_mov_b32_e32 v2, 0
	v_mov_b32_e32 v3, 0
	v_cmp_eq_u32_e64 s[4:5], s4, v30
	s_and_saveexec_b64 s[14:15], s[4:5]
	s_cbranch_execz .LBB6_728
; %bb.723:                              ;   in Loop: Header=BB6_659 Depth=1
	global_load_dwordx2 v[24:25], v26, s[6:7] offset:24 glc
	s_waitcnt vmcnt(0)
	buffer_wbinvl1_vol
	global_load_dwordx2 v[2:3], v26, s[6:7] offset:40
	global_load_dwordx2 v[22:23], v26, s[6:7]
	s_waitcnt vmcnt(1)
	v_and_b32_e32 v2, v2, v24
	v_and_b32_e32 v3, v3, v25
	v_mul_lo_u32 v3, v3, 24
	v_mul_hi_u32 v27, v2, 24
	v_mul_lo_u32 v2, v2, 24
	v_add_u32_e32 v3, v27, v3
	s_waitcnt vmcnt(0)
	v_add_co_u32_e32 v2, vcc, v22, v2
	v_addc_co_u32_e32 v3, vcc, v23, v3, vcc
	global_load_dwordx2 v[22:23], v[2:3], off glc
	s_waitcnt vmcnt(0)
	global_atomic_cmpswap_x2 v[2:3], v26, v[22:25], s[6:7] offset:24 glc
	s_waitcnt vmcnt(0)
	buffer_wbinvl1_vol
	v_cmp_ne_u64_e32 vcc, v[2:3], v[24:25]
	s_and_saveexec_b64 s[16:17], vcc
	s_cbranch_execz .LBB6_727
; %bb.724:                              ;   in Loop: Header=BB6_659 Depth=1
	s_mov_b64 s[18:19], 0
.LBB6_725:                              ;   Parent Loop BB6_659 Depth=1
                                        ; =>  This Inner Loop Header: Depth=2
	s_sleep 1
	global_load_dwordx2 v[22:23], v26, s[6:7] offset:40
	global_load_dwordx2 v[27:28], v26, s[6:7]
	v_mov_b32_e32 v25, v3
	v_mov_b32_e32 v24, v2
	s_waitcnt vmcnt(1)
	v_and_b32_e32 v2, v22, v24
	s_waitcnt vmcnt(0)
	v_mad_u64_u32 v[2:3], s[20:21], v2, 24, v[27:28]
	v_and_b32_e32 v22, v23, v25
	v_mad_u64_u32 v[22:23], s[20:21], v22, 24, v[3:4]
	v_mov_b32_e32 v3, v22
	global_load_dwordx2 v[22:23], v[2:3], off glc
	s_waitcnt vmcnt(0)
	global_atomic_cmpswap_x2 v[2:3], v26, v[22:25], s[6:7] offset:24 glc
	s_waitcnt vmcnt(0)
	buffer_wbinvl1_vol
	v_cmp_eq_u64_e32 vcc, v[2:3], v[24:25]
	s_or_b64 s[18:19], vcc, s[18:19]
	s_andn2_b64 exec, exec, s[18:19]
	s_cbranch_execnz .LBB6_725
; %bb.726:                              ;   in Loop: Header=BB6_659 Depth=1
	s_or_b64 exec, exec, s[18:19]
.LBB6_727:                              ;   in Loop: Header=BB6_659 Depth=1
	s_or_b64 exec, exec, s[16:17]
.LBB6_728:                              ;   in Loop: Header=BB6_659 Depth=1
	s_or_b64 exec, exec, s[14:15]
	global_load_dwordx2 v[27:28], v26, s[6:7] offset:40
	global_load_dwordx4 v[22:25], v26, s[6:7]
	v_readfirstlane_b32 s15, v3
	v_readfirstlane_b32 s14, v2
	s_mov_b64 s[16:17], exec
	s_waitcnt vmcnt(1)
	v_readfirstlane_b32 s18, v27
	v_readfirstlane_b32 s19, v28
	s_and_b64 s[18:19], s[18:19], s[14:15]
	s_mul_i32 s20, s19, 24
	s_mul_hi_u32 s21, s18, 24
	s_mul_i32 s22, s18, 24
	s_add_i32 s20, s21, s20
	v_mov_b32_e32 v2, s20
	s_waitcnt vmcnt(0)
	v_add_co_u32_e32 v27, vcc, s22, v22
	v_addc_co_u32_e32 v28, vcc, v23, v2, vcc
	s_and_saveexec_b64 s[20:21], s[4:5]
	s_cbranch_execz .LBB6_730
; %bb.729:                              ;   in Loop: Header=BB6_659 Depth=1
	v_mov_b32_e32 v2, s16
	v_mov_b32_e32 v3, s17
	global_store_dwordx4 v[27:28], v[2:5], off offset:8
.LBB6_730:                              ;   in Loop: Header=BB6_659 Depth=1
	s_or_b64 exec, exec, s[20:21]
	s_lshl_b64 s[16:17], s[18:19], 12
	v_cmp_gt_u64_e64 s[18:19], s[10:11], 56
	v_mov_b32_e32 v2, s17
	v_add_co_u32_e32 v24, vcc, s16, v24
	s_and_b64 s[16:17], s[18:19], exec
	s_cselect_b32 s16, 0, 2
	s_lshl_b32 s17, s12, 2
	v_addc_co_u32_e32 v31, vcc, v25, v2, vcc
	s_add_i32 s17, s17, 28
	v_and_b32_e32 v2, 0xffffff1f, v6
	s_and_b32 s17, s17, 0x1e0
	v_or_b32_e32 v2, s16, v2
	v_or_b32_e32 v6, s17, v2
	v_readfirstlane_b32 s16, v24
	v_readfirstlane_b32 s17, v31
	s_nop 4
	global_store_dwordx4 v29, v[6:9], s[16:17]
	global_store_dwordx4 v29, v[10:13], s[16:17] offset:16
	global_store_dwordx4 v29, v[14:17], s[16:17] offset:32
	global_store_dwordx4 v29, v[18:21], s[16:17] offset:48
	s_and_saveexec_b64 s[16:17], s[4:5]
	s_cbranch_execz .LBB6_738
; %bb.731:                              ;   in Loop: Header=BB6_659 Depth=1
	global_load_dwordx2 v[10:11], v26, s[6:7] offset:32 glc
	global_load_dwordx2 v[2:3], v26, s[6:7] offset:40
	v_mov_b32_e32 v8, s14
	v_mov_b32_e32 v9, s15
	s_waitcnt vmcnt(0)
	v_readfirstlane_b32 s18, v2
	v_readfirstlane_b32 s19, v3
	s_and_b64 s[18:19], s[18:19], s[14:15]
	s_mul_i32 s19, s19, 24
	s_mul_hi_u32 s20, s18, 24
	s_mul_i32 s18, s18, 24
	s_add_i32 s19, s20, s19
	v_mov_b32_e32 v3, s19
	v_add_co_u32_e32 v2, vcc, s18, v22
	v_addc_co_u32_e32 v3, vcc, v23, v3, vcc
	global_store_dwordx2 v[2:3], v[10:11], off
	s_waitcnt vmcnt(0)
	global_atomic_cmpswap_x2 v[8:9], v26, v[8:11], s[6:7] offset:32 glc
	s_waitcnt vmcnt(0)
	v_cmp_ne_u64_e32 vcc, v[8:9], v[10:11]
	s_and_saveexec_b64 s[18:19], vcc
	s_cbranch_execz .LBB6_734
; %bb.732:                              ;   in Loop: Header=BB6_659 Depth=1
	s_mov_b64 s[20:21], 0
.LBB6_733:                              ;   Parent Loop BB6_659 Depth=1
                                        ; =>  This Inner Loop Header: Depth=2
	s_sleep 1
	global_store_dwordx2 v[2:3], v[8:9], off
	v_mov_b32_e32 v6, s14
	v_mov_b32_e32 v7, s15
	s_waitcnt vmcnt(0)
	global_atomic_cmpswap_x2 v[6:7], v26, v[6:9], s[6:7] offset:32 glc
	s_waitcnt vmcnt(0)
	v_cmp_eq_u64_e32 vcc, v[6:7], v[8:9]
	v_mov_b32_e32 v9, v7
	s_or_b64 s[20:21], vcc, s[20:21]
	v_mov_b32_e32 v8, v6
	s_andn2_b64 exec, exec, s[20:21]
	s_cbranch_execnz .LBB6_733
.LBB6_734:                              ;   in Loop: Header=BB6_659 Depth=1
	s_or_b64 exec, exec, s[18:19]
	global_load_dwordx2 v[2:3], v26, s[6:7] offset:16
	s_mov_b64 s[20:21], exec
	v_mbcnt_lo_u32_b32 v6, s20, 0
	v_mbcnt_hi_u32_b32 v6, s21, v6
	v_cmp_eq_u32_e32 vcc, 0, v6
	s_and_saveexec_b64 s[18:19], vcc
	s_cbranch_execz .LBB6_736
; %bb.735:                              ;   in Loop: Header=BB6_659 Depth=1
	s_bcnt1_i32_b64 s20, s[20:21]
	v_mov_b32_e32 v25, s20
	s_waitcnt vmcnt(0)
	global_atomic_add_x2 v[2:3], v[25:26], off offset:8
.LBB6_736:                              ;   in Loop: Header=BB6_659 Depth=1
	s_or_b64 exec, exec, s[18:19]
	s_waitcnt vmcnt(0)
	global_load_dwordx2 v[6:7], v[2:3], off offset:16
	s_waitcnt vmcnt(0)
	v_cmp_eq_u64_e32 vcc, 0, v[6:7]
	s_cbranch_vccnz .LBB6_738
; %bb.737:                              ;   in Loop: Header=BB6_659 Depth=1
	global_load_dword v25, v[2:3], off offset:24
	s_waitcnt vmcnt(0)
	v_readfirstlane_b32 s18, v25
	s_and_b32 m0, s18, 0xffffff
	global_store_dwordx2 v[6:7], v[25:26], off
	s_sendmsg sendmsg(MSG_INTERRUPT)
.LBB6_738:                              ;   in Loop: Header=BB6_659 Depth=1
	s_or_b64 exec, exec, s[16:17]
	v_add_co_u32_e32 v2, vcc, v24, v29
	v_addc_co_u32_e32 v3, vcc, 0, v31, vcc
	s_branch .LBB6_742
.LBB6_739:                              ;   in Loop: Header=BB6_742 Depth=2
	s_or_b64 exec, exec, s[16:17]
	v_readfirstlane_b32 s16, v6
	s_cmp_eq_u32 s16, 0
	s_cbranch_scc1 .LBB6_741
; %bb.740:                              ;   in Loop: Header=BB6_742 Depth=2
	s_sleep 1
	s_cbranch_execnz .LBB6_742
	s_branch .LBB6_744
.LBB6_741:                              ;   in Loop: Header=BB6_659 Depth=1
	s_branch .LBB6_744
.LBB6_742:                              ;   Parent Loop BB6_659 Depth=1
                                        ; =>  This Inner Loop Header: Depth=2
	v_mov_b32_e32 v6, 1
	s_and_saveexec_b64 s[16:17], s[4:5]
	s_cbranch_execz .LBB6_739
; %bb.743:                              ;   in Loop: Header=BB6_742 Depth=2
	global_load_dword v6, v[27:28], off offset:20 glc
	s_waitcnt vmcnt(0)
	buffer_wbinvl1_vol
	v_and_b32_e32 v6, 1, v6
	s_branch .LBB6_739
.LBB6_744:                              ;   in Loop: Header=BB6_659 Depth=1
	global_load_dwordx4 v[6:9], v[2:3], off
	s_and_saveexec_b64 s[16:17], s[4:5]
	s_cbranch_execz .LBB6_658
; %bb.745:                              ;   in Loop: Header=BB6_659 Depth=1
	global_load_dwordx2 v[2:3], v26, s[6:7] offset:40
	global_load_dwordx2 v[12:13], v26, s[6:7] offset:24 glc
	global_load_dwordx2 v[8:9], v26, s[6:7]
	s_waitcnt vmcnt(2)
	v_readfirstlane_b32 s18, v2
	v_readfirstlane_b32 s19, v3
	s_add_u32 s20, s18, 1
	s_addc_u32 s21, s19, 0
	s_add_u32 s4, s20, s14
	s_addc_u32 s5, s21, s15
	s_cmp_eq_u64 s[4:5], 0
	s_cselect_b32 s5, s21, s5
	s_cselect_b32 s4, s20, s4
	s_and_b64 s[14:15], s[4:5], s[18:19]
	s_mul_i32 s15, s15, 24
	s_mul_hi_u32 s18, s14, 24
	s_mul_i32 s14, s14, 24
	s_add_i32 s15, s18, s15
	v_mov_b32_e32 v3, s15
	s_waitcnt vmcnt(0)
	v_add_co_u32_e32 v2, vcc, s14, v8
	v_addc_co_u32_e32 v3, vcc, v9, v3, vcc
	v_mov_b32_e32 v10, s4
	global_store_dwordx2 v[2:3], v[12:13], off
	v_mov_b32_e32 v11, s5
	s_waitcnt vmcnt(0)
	global_atomic_cmpswap_x2 v[10:11], v26, v[10:13], s[6:7] offset:24 glc
	s_waitcnt vmcnt(0)
	v_cmp_ne_u64_e32 vcc, v[10:11], v[12:13]
	s_and_b64 exec, exec, vcc
	s_cbranch_execz .LBB6_658
; %bb.746:                              ;   in Loop: Header=BB6_659 Depth=1
	s_mov_b64 s[14:15], 0
.LBB6_747:                              ;   Parent Loop BB6_659 Depth=1
                                        ; =>  This Inner Loop Header: Depth=2
	s_sleep 1
	global_store_dwordx2 v[2:3], v[10:11], off
	v_mov_b32_e32 v8, s4
	v_mov_b32_e32 v9, s5
	s_waitcnt vmcnt(0)
	global_atomic_cmpswap_x2 v[8:9], v26, v[8:11], s[6:7] offset:24 glc
	s_waitcnt vmcnt(0)
	v_cmp_eq_u64_e32 vcc, v[8:9], v[10:11]
	v_mov_b32_e32 v11, v9
	s_or_b64 s[14:15], vcc, s[14:15]
	v_mov_b32_e32 v10, v8
	s_andn2_b64 exec, exec, s[14:15]
	s_cbranch_execnz .LBB6_747
	s_branch .LBB6_658
.LBB6_748:
	s_mov_b64 s[4:5], 0
	s_branch .LBB6_750
.LBB6_749:
	s_mov_b64 s[4:5], -1
.LBB6_750:
	s_and_b64 vcc, exec, s[4:5]
	s_cbranch_vccz .LBB6_777
; %bb.751:
	v_readfirstlane_b32 s4, v30
	s_waitcnt vmcnt(0)
	v_mov_b32_e32 v8, 0
	v_mov_b32_e32 v9, 0
	v_cmp_eq_u32_e64 s[4:5], s4, v30
	s_and_saveexec_b64 s[8:9], s[4:5]
	s_cbranch_execz .LBB6_757
; %bb.752:
	v_mov_b32_e32 v2, 0
	global_load_dwordx2 v[5:6], v2, s[6:7] offset:24 glc
	s_waitcnt vmcnt(0)
	buffer_wbinvl1_vol
	global_load_dwordx2 v[3:4], v2, s[6:7] offset:40
	global_load_dwordx2 v[7:8], v2, s[6:7]
	s_waitcnt vmcnt(1)
	v_and_b32_e32 v3, v3, v5
	v_and_b32_e32 v4, v4, v6
	v_mul_lo_u32 v4, v4, 24
	v_mul_hi_u32 v9, v3, 24
	v_mul_lo_u32 v3, v3, 24
	v_add_u32_e32 v4, v9, v4
	s_waitcnt vmcnt(0)
	v_add_co_u32_e32 v3, vcc, v7, v3
	v_addc_co_u32_e32 v4, vcc, v8, v4, vcc
	global_load_dwordx2 v[3:4], v[3:4], off glc
	s_waitcnt vmcnt(0)
	global_atomic_cmpswap_x2 v[8:9], v2, v[3:6], s[6:7] offset:24 glc
	s_waitcnt vmcnt(0)
	buffer_wbinvl1_vol
	v_cmp_ne_u64_e32 vcc, v[8:9], v[5:6]
	s_and_saveexec_b64 s[10:11], vcc
	s_cbranch_execz .LBB6_756
; %bb.753:
	s_mov_b64 s[12:13], 0
.LBB6_754:                              ; =>This Inner Loop Header: Depth=1
	s_sleep 1
	global_load_dwordx2 v[3:4], v2, s[6:7] offset:40
	global_load_dwordx2 v[10:11], v2, s[6:7]
	v_mov_b32_e32 v5, v8
	v_mov_b32_e32 v6, v9
	s_waitcnt vmcnt(1)
	v_and_b32_e32 v3, v3, v5
	s_waitcnt vmcnt(0)
	v_mad_u64_u32 v[7:8], s[14:15], v3, 24, v[10:11]
	v_and_b32_e32 v4, v4, v6
	v_mov_b32_e32 v3, v8
	v_mad_u64_u32 v[3:4], s[14:15], v4, 24, v[3:4]
	v_mov_b32_e32 v8, v3
	global_load_dwordx2 v[3:4], v[7:8], off glc
	s_waitcnt vmcnt(0)
	global_atomic_cmpswap_x2 v[8:9], v2, v[3:6], s[6:7] offset:24 glc
	s_waitcnt vmcnt(0)
	buffer_wbinvl1_vol
	v_cmp_eq_u64_e32 vcc, v[8:9], v[5:6]
	s_or_b64 s[12:13], vcc, s[12:13]
	s_andn2_b64 exec, exec, s[12:13]
	s_cbranch_execnz .LBB6_754
; %bb.755:
	s_or_b64 exec, exec, s[12:13]
	s_mov_b64 s[76:77], 0
.LBB6_756:
	s_or_b64 exec, exec, s[10:11]
.LBB6_757:
	s_or_b64 exec, exec, s[8:9]
	v_mov_b32_e32 v2, 0
	global_load_dwordx2 v[10:11], v2, s[6:7] offset:40
	global_load_dwordx4 v[4:7], v2, s[6:7]
	v_readfirstlane_b32 s9, v9
	v_readfirstlane_b32 s8, v8
	s_mov_b64 s[10:11], exec
	s_waitcnt vmcnt(1)
	v_readfirstlane_b32 s12, v10
	v_readfirstlane_b32 s13, v11
	s_and_b64 s[12:13], s[12:13], s[8:9]
	s_mul_i32 s14, s13, 24
	s_mul_hi_u32 s15, s12, 24
	s_mul_i32 s16, s12, 24
	s_add_i32 s14, s15, s14
	v_mov_b32_e32 v3, s14
	s_waitcnt vmcnt(0)
	v_add_co_u32_e32 v8, vcc, s16, v4
	v_addc_co_u32_e32 v9, vcc, v5, v3, vcc
	s_and_saveexec_b64 s[14:15], s[4:5]
	s_cbranch_execz .LBB6_759
; %bb.758:
	v_mov_b32_e32 v10, s10
	v_mov_b32_e32 v11, s11
	;; [unrolled: 1-line block ×4, first 2 shown]
	global_store_dwordx4 v[8:9], v[10:13], off offset:8
.LBB6_759:
	s_or_b64 exec, exec, s[14:15]
	s_lshl_b64 s[10:11], s[12:13], 12
	v_mov_b32_e32 v3, s11
	v_add_co_u32_e32 v6, vcc, s10, v6
	v_addc_co_u32_e32 v7, vcc, v7, v3, vcc
	s_movk_i32 s10, 0xff1d
	v_and_or_b32 v0, v0, s10, 34
	s_mov_b32 s12, 0
	v_mov_b32_e32 v3, v2
	v_readfirstlane_b32 s10, v6
	v_readfirstlane_b32 s11, v7
	s_mov_b32 s13, s12
	s_mov_b32 s14, s12
	;; [unrolled: 1-line block ×3, first 2 shown]
	s_nop 1
	global_store_dwordx4 v29, v[0:3], s[10:11]
	s_nop 0
	v_mov_b32_e32 v0, s12
	v_mov_b32_e32 v1, s13
	;; [unrolled: 1-line block ×4, first 2 shown]
	global_store_dwordx4 v29, v[0:3], s[10:11] offset:16
	global_store_dwordx4 v29, v[0:3], s[10:11] offset:32
	;; [unrolled: 1-line block ×3, first 2 shown]
	s_and_saveexec_b64 s[10:11], s[4:5]
	s_cbranch_execz .LBB6_767
; %bb.760:
	v_mov_b32_e32 v6, 0
	global_load_dwordx2 v[12:13], v6, s[6:7] offset:32 glc
	global_load_dwordx2 v[0:1], v6, s[6:7] offset:40
	v_mov_b32_e32 v10, s8
	v_mov_b32_e32 v11, s9
	s_waitcnt vmcnt(0)
	v_readfirstlane_b32 s12, v0
	v_readfirstlane_b32 s13, v1
	s_and_b64 s[12:13], s[12:13], s[8:9]
	s_mul_i32 s13, s13, 24
	s_mul_hi_u32 s14, s12, 24
	s_mul_i32 s12, s12, 24
	s_add_i32 s13, s14, s13
	v_mov_b32_e32 v0, s13
	v_add_co_u32_e32 v4, vcc, s12, v4
	v_addc_co_u32_e32 v5, vcc, v5, v0, vcc
	global_store_dwordx2 v[4:5], v[12:13], off
	s_waitcnt vmcnt(0)
	global_atomic_cmpswap_x2 v[2:3], v6, v[10:13], s[6:7] offset:32 glc
	s_waitcnt vmcnt(0)
	v_cmp_ne_u64_e32 vcc, v[2:3], v[12:13]
	s_and_saveexec_b64 s[12:13], vcc
	s_cbranch_execz .LBB6_763
; %bb.761:
	s_mov_b64 s[14:15], 0
.LBB6_762:                              ; =>This Inner Loop Header: Depth=1
	s_sleep 1
	global_store_dwordx2 v[4:5], v[2:3], off
	v_mov_b32_e32 v0, s8
	v_mov_b32_e32 v1, s9
	s_waitcnt vmcnt(0)
	global_atomic_cmpswap_x2 v[0:1], v6, v[0:3], s[6:7] offset:32 glc
	s_waitcnt vmcnt(0)
	v_cmp_eq_u64_e32 vcc, v[0:1], v[2:3]
	v_mov_b32_e32 v3, v1
	s_or_b64 s[14:15], vcc, s[14:15]
	v_mov_b32_e32 v2, v0
	s_andn2_b64 exec, exec, s[14:15]
	s_cbranch_execnz .LBB6_762
.LBB6_763:
	s_or_b64 exec, exec, s[12:13]
	v_mov_b32_e32 v3, 0
	global_load_dwordx2 v[0:1], v3, s[6:7] offset:16
	s_mov_b64 s[12:13], exec
	v_mbcnt_lo_u32_b32 v2, s12, 0
	v_mbcnt_hi_u32_b32 v2, s13, v2
	v_cmp_eq_u32_e32 vcc, 0, v2
	s_and_saveexec_b64 s[14:15], vcc
	s_cbranch_execz .LBB6_765
; %bb.764:
	s_bcnt1_i32_b64 s12, s[12:13]
	v_mov_b32_e32 v2, s12
	s_waitcnt vmcnt(0)
	global_atomic_add_x2 v[0:1], v[2:3], off offset:8
.LBB6_765:
	s_or_b64 exec, exec, s[14:15]
	s_waitcnt vmcnt(0)
	global_load_dwordx2 v[2:3], v[0:1], off offset:16
	s_mov_b64 s[76:77], 0
	s_waitcnt vmcnt(0)
	v_cmp_eq_u64_e32 vcc, 0, v[2:3]
	s_cbranch_vccnz .LBB6_767
; %bb.766:
	global_load_dword v0, v[0:1], off offset:24
	v_mov_b32_e32 v1, 0
	s_waitcnt vmcnt(0)
	v_readfirstlane_b32 s12, v0
	s_and_b32 m0, s12, 0xffffff
	global_store_dwordx2 v[2:3], v[0:1], off
	s_sendmsg sendmsg(MSG_INTERRUPT)
.LBB6_767:
	s_or_b64 exec, exec, s[10:11]
	s_branch .LBB6_771
.LBB6_768:                              ;   in Loop: Header=BB6_771 Depth=1
	s_or_b64 exec, exec, s[10:11]
	v_readfirstlane_b32 s10, v0
	s_cmp_eq_u32 s10, 0
	s_cbranch_scc1 .LBB6_770
; %bb.769:                              ;   in Loop: Header=BB6_771 Depth=1
	s_sleep 1
	s_cbranch_execnz .LBB6_771
	s_branch .LBB6_773
.LBB6_770:
	s_branch .LBB6_773
.LBB6_771:                              ; =>This Inner Loop Header: Depth=1
	v_mov_b32_e32 v0, 1
	s_and_saveexec_b64 s[10:11], s[4:5]
	s_cbranch_execz .LBB6_768
; %bb.772:                              ;   in Loop: Header=BB6_771 Depth=1
	global_load_dword v0, v[8:9], off offset:20 glc
	s_waitcnt vmcnt(0)
	buffer_wbinvl1_vol
	v_and_b32_e32 v0, 1, v0
	s_branch .LBB6_768
.LBB6_773:
	s_and_saveexec_b64 s[10:11], s[4:5]
	s_cbranch_execz .LBB6_776
; %bb.774:
	v_mov_b32_e32 v6, 0
	global_load_dwordx2 v[0:1], v6, s[6:7] offset:40
	global_load_dwordx2 v[9:10], v6, s[6:7] offset:24 glc
	global_load_dwordx2 v[2:3], v6, s[6:7]
	s_waitcnt vmcnt(2)
	v_readfirstlane_b32 s12, v0
	v_readfirstlane_b32 s13, v1
	s_add_u32 s14, s12, 1
	s_addc_u32 s15, s13, 0
	s_add_u32 s4, s14, s8
	s_addc_u32 s5, s15, s9
	s_cmp_eq_u64 s[4:5], 0
	s_cselect_b32 s5, s15, s5
	s_cselect_b32 s4, s14, s4
	s_and_b64 s[8:9], s[4:5], s[12:13]
	s_mul_i32 s9, s9, 24
	s_mul_hi_u32 s12, s8, 24
	s_mul_i32 s8, s8, 24
	s_add_i32 s9, s12, s9
	v_mov_b32_e32 v0, s9
	s_waitcnt vmcnt(0)
	v_add_co_u32_e32 v4, vcc, s8, v2
	v_addc_co_u32_e32 v5, vcc, v3, v0, vcc
	v_mov_b32_e32 v7, s4
	global_store_dwordx2 v[4:5], v[9:10], off
	v_mov_b32_e32 v8, s5
	s_waitcnt vmcnt(0)
	global_atomic_cmpswap_x2 v[2:3], v6, v[7:10], s[6:7] offset:24 glc
	s_mov_b64 s[8:9], 0
	s_waitcnt vmcnt(0)
	v_cmp_ne_u64_e32 vcc, v[2:3], v[9:10]
	s_and_b64 exec, exec, vcc
	s_cbranch_execz .LBB6_776
.LBB6_775:                              ; =>This Inner Loop Header: Depth=1
	s_sleep 1
	global_store_dwordx2 v[4:5], v[2:3], off
	v_mov_b32_e32 v0, s4
	v_mov_b32_e32 v1, s5
	s_waitcnt vmcnt(0)
	global_atomic_cmpswap_x2 v[0:1], v6, v[0:3], s[6:7] offset:24 glc
	s_waitcnt vmcnt(0)
	v_cmp_eq_u64_e32 vcc, v[0:1], v[2:3]
	v_mov_b32_e32 v3, v1
	s_or_b64 s[8:9], vcc, s[8:9]
	v_mov_b32_e32 v2, v0
	s_andn2_b64 exec, exec, s[8:9]
	s_cbranch_execnz .LBB6_775
.LBB6_776:
	s_or_b64 exec, exec, s[10:11]
.LBB6_777:
	s_getpc_b64 s[4:5]
	s_add_u32 s4, s4, .str.29@rel32@lo+4
	s_addc_u32 s5, s5, .str.29@rel32@hi+12
	s_getpc_b64 s[6:7]
	s_add_u32 s6, s6, .str.19@rel32@lo+4
	s_addc_u32 s7, s7, .str.19@rel32@hi+12
	s_getpc_b64 s[10:11]
	s_add_u32 s10, s10, __PRETTY_FUNCTION__._ZN7VecsMemIjLi8192EE5fetchEi@rel32@lo+4
	s_addc_u32 s11, s11, __PRETTY_FUNCTION__._ZN7VecsMemIjLi8192EE5fetchEi@rel32@hi+12
	s_getpc_b64 s[12:13]
	s_add_u32 s12, s12, __assert_fail@rel32@lo+4
	s_addc_u32 s13, s13, __assert_fail@rel32@hi+12
	s_mov_b64 s[8:9], s[64:65]
	s_waitcnt vmcnt(4)
	v_mov_b32_e32 v0, s4
	v_mov_b32_e32 v1, s5
	;; [unrolled: 1-line block ×6, first 2 shown]
	s_waitcnt vmcnt(0)
	v_mov_b32_e32 v6, s11
	s_swappc_b64 s[30:31], s[12:13]
	buffer_load_dword v15, off, s[0:3], s33 offset:168 ; 4-byte Folded Reload
	buffer_load_dword v16, off, s[0:3], s33 offset:172 ; 4-byte Folded Reload
	;; [unrolled: 1-line block ×4, first 2 shown]
	s_or_b64 s[4:5], s[26:27], exec
	v_mov_b32_e32 v6, v41
.LBB6_778:
	s_or_b64 exec, exec, s[56:57]
	s_andn2_b64 s[6:7], s[26:27], exec
	s_and_b64 s[4:5], s[4:5], exec
	s_or_b64 s[56:57], s[6:7], s[4:5]
	s_orn2_b64 s[4:5], s[94:95], exec
.LBB6_779:
	s_or_b64 exec, exec, s[58:59]
	s_mov_b64 s[6:7], 0
                                        ; implicit-def: $vgpr41
	s_and_saveexec_b64 s[94:95], s[4:5]
	s_cbranch_execz .LBB6_1863
; %bb.780:
	v_mov_b32_e32 v0, 0
	v_cmp_lt_i32_e32 vcc, 0, v56
	s_waitcnt vmcnt(0)
	buffer_store_dword v18, off, s[0:3], s33 offset:164
	buffer_store_dword v17, off, s[0:3], s33 offset:160
	s_and_saveexec_b64 s[4:5], vcc
	s_cbranch_execz .LBB6_788
; %bb.781:
	v_mov_b32_e32 v2, v58
	v_mov_b32_e32 v4, 0
	s_mov_b32 s10, 0
	v_mov_b32_e32 v3, v59
	v_mov_b32_e32 v0, 0
	s_branch .LBB6_783
.LBB6_782:                              ;   in Loop: Header=BB6_783 Depth=1
	s_or_b64 exec, exec, s[8:9]
	flat_load_dword v1, v[53:54] offset:4
	s_add_i32 s10, s10, 1
	s_waitcnt vmcnt(0) lgkmcnt(0)
	v_cmp_ge_i32_e32 vcc, s10, v1
	s_or_b64 s[6:7], vcc, s[6:7]
	v_add_co_u32_e32 v2, vcc, 4, v2
	v_addc_co_u32_e32 v3, vcc, 0, v3, vcc
	s_andn2_b64 exec, exec, s[6:7]
	s_cbranch_execz .LBB6_787
.LBB6_783:                              ; =>This Inner Loop Header: Depth=1
	flat_load_dword v5, v[2:3]
	s_waitcnt vmcnt(0) lgkmcnt(0)
	v_cmp_gt_i32_e32 vcc, 0, v5
	s_and_saveexec_b64 s[8:9], vcc
	s_xor_b64 s[8:9], exec, s[8:9]
	s_cbranch_execz .LBB6_785
; %bb.784:                              ;   in Loop: Header=BB6_783 Depth=1
	v_and_b32_e32 v1, 0x7fffffff, v5
	flat_store_dword v[2:3], v1
                                        ; implicit-def: $vgpr5
.LBB6_785:                              ;   in Loop: Header=BB6_783 Depth=1
	s_andn2_saveexec_b64 s[8:9], s[8:9]
	s_cbranch_execz .LBB6_782
; %bb.786:                              ;   in Loop: Header=BB6_783 Depth=1
	v_ashrrev_i32_e32 v1, 31, v0
	v_add_u32_e32 v4, 1, v0
	v_lshlrev_b64 v[0:1], 2, v[0:1]
	v_add_co_u32_e32 v0, vcc, v17, v0
	v_addc_co_u32_e32 v1, vcc, v18, v1, vcc
	flat_store_dword v[0:1], v5
	v_mov_b32_e32 v0, v4
	s_branch .LBB6_782
.LBB6_787:
	s_or_b64 exec, exec, s[6:7]
	buffer_store_dword v4, off, s[0:3], s33 offset:156
.LBB6_788:
	s_or_b64 exec, exec, s[4:5]
	v_cmp_ne_u32_e32 vcc, v6, v0
	s_mov_b64 s[58:59], s[56:57]
	s_and_saveexec_b64 s[4:5], vcc
	s_xor_b64 s[34:35], exec, s[4:5]
	s_cbranch_execz .LBB6_790
; %bb.789:
	s_getpc_b64 s[4:5]
	s_add_u32 s4, s4, .str.40@rel32@lo+4
	s_addc_u32 s5, s5, .str.40@rel32@hi+12
	s_getpc_b64 s[6:7]
	s_add_u32 s6, s6, .str.31@rel32@lo+4
	s_addc_u32 s7, s7, .str.31@rel32@hi+12
	s_getpc_b64 s[10:11]
	s_add_u32 s10, s10, __PRETTY_FUNCTION__._ZN3sop17sopDivideInternalEPNS_3SopES1_S1_S1_P7VecsMemIjLi8192EE@rel32@lo+4
	s_addc_u32 s11, s11, __PRETTY_FUNCTION__._ZN3sop17sopDivideInternalEPNS_3SopES1_S1_S1_P7VecsMemIjLi8192EE@rel32@hi+12
	s_getpc_b64 s[12:13]
	s_add_u32 s12, s12, __assert_fail@rel32@lo+4
	s_addc_u32 s13, s13, __assert_fail@rel32@hi+12
	s_mov_b64 s[8:9], s[64:65]
	v_mov_b32_e32 v0, s4
	v_mov_b32_e32 v1, s5
	;; [unrolled: 1-line block ×7, first 2 shown]
	s_swappc_b64 s[30:31], s[12:13]
	s_or_b64 s[58:59], s[56:57], exec
                                        ; implicit-def: $vgpr15_vgpr16
                                        ; implicit-def: $vgpr46
                                        ; implicit-def: $vgpr58_vgpr59
                                        ; implicit-def: $vgpr44_vgpr45
                                        ; implicit-def: $vgpr42_vgpr43
                                        ; implicit-def: $vgpr47
                                        ; implicit-def: $vgpr53_vgpr54
.LBB6_790:
	s_or_saveexec_b64 s[36:37], s[34:35]
	s_mov_b64 s[4:5], 0
                                        ; implicit-def: $vgpr41
	s_xor_b64 exec, exec, s[36:37]
	s_cbranch_execz .LBB6_1862
; %bb.791:
	v_cmp_gt_i32_e32 vcc, 1, v60
	s_mov_b64 s[4:5], s[58:59]
	s_and_saveexec_b64 s[6:7], vcc
	s_xor_b64 s[34:35], exec, s[6:7]
	s_cbranch_execz .LBB6_793
; %bb.792:
	s_getpc_b64 s[4:5]
	s_add_u32 s4, s4, .str.33@rel32@lo+4
	s_addc_u32 s5, s5, .str.33@rel32@hi+12
	s_getpc_b64 s[6:7]
	s_add_u32 s6, s6, .str.31@rel32@lo+4
	s_addc_u32 s7, s7, .str.31@rel32@hi+12
	s_getpc_b64 s[10:11]
	s_add_u32 s10, s10, __PRETTY_FUNCTION__._ZN3sop18sopCommonCubeCoverEPNS_3SopES1_P7VecsMemIjLi8192EE@rel32@lo+4
	s_addc_u32 s11, s11, __PRETTY_FUNCTION__._ZN3sop18sopCommonCubeCoverEPNS_3SopES1_P7VecsMemIjLi8192EE@rel32@hi+12
	s_getpc_b64 s[12:13]
	s_add_u32 s12, s12, __assert_fail@rel32@lo+4
	s_addc_u32 s13, s13, __assert_fail@rel32@hi+12
	s_mov_b64 s[8:9], s[64:65]
	v_mov_b32_e32 v0, s4
	v_mov_b32_e32 v1, s5
	;; [unrolled: 1-line block ×7, first 2 shown]
	s_swappc_b64 s[30:31], s[12:13]
	s_or_b64 s[4:5], s[58:59], exec
                                        ; implicit-def: $vgpr15_vgpr16
                                        ; implicit-def: $vgpr46
                                        ; implicit-def: $vgpr58_vgpr59
                                        ; implicit-def: $vgpr44_vgpr45
                                        ; implicit-def: $vgpr42_vgpr43
                                        ; implicit-def: $vgpr47
                                        ; implicit-def: $vgpr53_vgpr54
.LBB6_793:
	s_or_saveexec_b64 s[6:7], s[34:35]
	s_mov_b64 s[8:9], 0
                                        ; implicit-def: $vgpr41
	s_xor_b64 exec, exec, s[6:7]
	s_cbranch_execz .LBB6_1861
; %bb.794:
	v_mov_b32_e32 v0, v15
	v_mov_b32_e32 v2, -1
	v_mov_b32_e32 v1, v16
	v_mov_b32_e32 v3, v60
.LBB6_795:                              ; =>This Inner Loop Header: Depth=1
	flat_load_dword v4, v[0:1]
	v_add_co_u32_e32 v0, vcc, 4, v0
	v_add_u32_e32 v3, -1, v3
	v_addc_co_u32_e32 v1, vcc, 0, v1, vcc
	v_cmp_eq_u32_e32 vcc, 0, v3
	s_or_b64 s[8:9], vcc, s[8:9]
	s_waitcnt vmcnt(0) lgkmcnt(0)
	v_and_b32_e32 v2, v4, v2
	s_andn2_b64 exec, exec, s[8:9]
	s_cbranch_execnz .LBB6_795
; %bb.796:
	s_or_b64 exec, exec, s[8:9]
	s_mov_b64 s[48:49], 0
	s_mov_b64 s[34:35], s[4:5]
	v_cmp_ne_u32_e32 vcc, 0, v2
                                        ; implicit-def: $vgpr41
	s_mov_b64 s[8:9], exec
	v_writelane_b32 v62, s46, 22
	v_writelane_b32 v62, s47, 23
	;; [unrolled: 1-line block ×28, first 2 shown]
	s_and_b64 s[10:11], s[8:9], vcc
	v_writelane_b32 v62, s4, 6
	s_xor_b64 s[8:9], s[10:11], s[8:9]
	v_writelane_b32 v62, s5, 7
	s_mov_b64 exec, s[10:11]
	s_cbranch_execz .LBB6_1643
; %bb.797:
	flat_load_dword v0, v[44:45]
	v_writelane_b32 v62, s8, 38
	v_writelane_b32 v62, s9, 39
	v_writelane_b32 v62, s92, 36
	v_writelane_b32 v62, s93, 37
	v_writelane_b32 v62, s62, 16
	v_writelane_b32 v62, s63, 17
	v_writelane_b32 v62, s28, 20
	v_writelane_b32 v62, s29, 21
	v_writelane_b32 v62, s42, 26
	v_writelane_b32 v62, s43, 27
	v_writelane_b32 v62, s74, 40
	s_movk_i32 s6, 0x2000
	v_writelane_b32 v62, s75, 41
	s_mov_b64 s[26:27], 0
	s_mov_b64 s[28:29], s[4:5]
                                        ; implicit-def: $vgpr41
	s_waitcnt vmcnt(0) lgkmcnt(0)
	v_cmp_gt_i32_e32 vcc, s6, v0
	s_and_saveexec_b64 s[4:5], vcc
	s_xor_b64 s[4:5], exec, s[4:5]
	s_cbranch_execz .LBB6_1494
; %bb.798:
	v_writelane_b32 v62, s4, 42
	v_writelane_b32 v62, s5, 43
	v_add_u32_e32 v1, 1, v0
	v_mov_b32_e32 v2, -1
	s_mov_b64 s[4:5], 0
	flat_store_dword v[44:45], v1
.LBB6_799:                              ; =>This Inner Loop Header: Depth=1
	flat_load_dword v1, v[15:16]
	v_add_co_u32_e32 v15, vcc, 4, v15
	v_add_u32_e32 v60, -1, v60
	v_addc_co_u32_e32 v16, vcc, 0, v16, vcc
	v_cmp_eq_u32_e32 vcc, 0, v60
	s_or_b64 s[4:5], vcc, s[4:5]
	s_waitcnt vmcnt(0) lgkmcnt(0)
	v_and_b32_e32 v2, v1, v2
	s_andn2_b64 exec, exec, s[4:5]
	s_cbranch_execnz .LBB6_799
; %bb.800:
	s_or_b64 exec, exec, s[4:5]
	v_ashrrev_i32_e32 v1, 31, v0
	v_lshlrev_b64 v[0:1], 2, v[0:1]
	v_mov_b32_e32 v3, -1
	v_add_co_u32_e32 v0, vcc, v44, v0
	v_addc_co_u32_e32 v1, vcc, v45, v1, vcc
	flat_store_dword v[0:1], v2 offset:4
	s_mov_b64 s[6:7], exec
	v_readlane_b32 s4, v62, 40
	v_readlane_b32 s5, v62, 41
	s_and_b64 s[4:5], s[6:7], s[4:5]
	s_mov_b64 exec, s[4:5]
	s_cbranch_execz .LBB6_810
; %bb.801:
	s_mov_b32 s14, 0
	v_mov_b32_e32 v3, -1
	s_mov_b64 s[8:9], 0
	v_mov_b32_e32 v4, -1
	s_branch .LBB6_804
.LBB6_802:                              ;   in Loop: Header=BB6_804 Depth=1
	s_or_b64 exec, exec, s[4:5]
	v_cmp_lt_u32_e32 vcc, 1, v5
	v_cmp_lt_i32_e64 s[4:5], v3, v5
	v_mov_b32_e32 v0, s14
	s_and_b64 vcc, vcc, s[4:5]
	v_cndmask_b32_e32 v4, v4, v0, vcc
	v_cndmask_b32_e32 v3, v3, v5, vcc
.LBB6_803:                              ;   in Loop: Header=BB6_804 Depth=1
	s_or_b64 exec, exec, s[10:11]
	s_add_i32 s14, s14, 1
	v_cmp_eq_u32_e32 vcc, s14, v47
	s_or_b64 s[8:9], vcc, s[8:9]
	s_andn2_b64 exec, exec, s[8:9]
	s_cbranch_execz .LBB6_809
.LBB6_804:                              ; =>This Loop Header: Depth=1
                                        ;     Child Loop BB6_807 Depth 2
	v_lshrrev_b32_e32 v0, s14, v2
	v_and_b32_e32 v0, 1, v0
	v_cmp_eq_u32_e32 vcc, 1, v0
	s_and_saveexec_b64 s[10:11], vcc
	s_cbranch_execz .LBB6_803
; %bb.805:                              ;   in Loop: Header=BB6_804 Depth=1
	flat_load_dword v6, v[53:54] offset:4
	v_mov_b32_e32 v5, 0
	s_waitcnt vmcnt(0) lgkmcnt(0)
	v_cmp_lt_i32_e32 vcc, 0, v6
	s_and_saveexec_b64 s[4:5], vcc
	s_cbranch_execz .LBB6_802
; %bb.806:                              ;   in Loop: Header=BB6_804 Depth=1
	v_mov_b32_e32 v0, v58
	v_mov_b32_e32 v5, 0
	s_mov_b64 s[12:13], 0
	v_mov_b32_e32 v1, v59
.LBB6_807:                              ;   Parent Loop BB6_804 Depth=1
                                        ; =>  This Inner Loop Header: Depth=2
	flat_load_dword v7, v[0:1]
	v_add_co_u32_e32 v0, vcc, 4, v0
	v_add_u32_e32 v6, -1, v6
	v_addc_co_u32_e32 v1, vcc, 0, v1, vcc
	v_cmp_eq_u32_e32 vcc, 0, v6
	s_or_b64 s[12:13], vcc, s[12:13]
	s_waitcnt vmcnt(0) lgkmcnt(0)
	v_bfe_u32 v7, v7, s14, 1
	v_add_u32_e32 v5, v7, v5
	s_andn2_b64 exec, exec, s[12:13]
	s_cbranch_execnz .LBB6_807
; %bb.808:                              ;   in Loop: Header=BB6_804 Depth=1
	s_or_b64 exec, exec, s[12:13]
	s_branch .LBB6_802
.LBB6_809:
	s_or_b64 exec, exec, s[8:9]
	v_cmp_lt_i32_e32 vcc, -1, v3
	v_cndmask_b32_e32 v3, -1, v4, vcc
.LBB6_810:
	s_or_b64 exec, exec, s[6:7]
	flat_load_dword v0, v[44:45]
	s_movk_i32 s4, 0x2000
	v_readlane_b32 s28, v62, 6
	s_mov_b64 s[26:27], 0
	v_readlane_b32 s29, v62, 7
                                        ; implicit-def: $vgpr41
	s_waitcnt vmcnt(0) lgkmcnt(0)
	v_cmp_gt_i32_e32 vcc, s4, v0
	s_and_saveexec_b64 s[4:5], vcc
	s_xor_b64 s[4:5], exec, s[4:5]
	v_writelane_b32 v62, s4, 44
	v_writelane_b32 v62, s5, 45
	s_cbranch_execz .LBB6_1345
; %bb.811:
	v_add_u32_e32 v1, 1, v0
	flat_store_dword v[44:45], v1
	v_ashrrev_i32_e32 v1, 31, v0
	v_lshlrev_b64 v[0:1], 2, v[0:1]
	v_lshlrev_b32_e64 v55, v3, 1
	v_add_co_u32_e32 v0, vcc, v44, v0
	v_addc_co_u32_e32 v1, vcc, v45, v1, vcc
	buffer_store_dword v0, off, s[0:3], s33 offset:176 ; 4-byte Folded Spill
	s_nop 0
	buffer_store_dword v1, off, s[0:3], s33 offset:180 ; 4-byte Folded Spill
	v_mov_b32_e32 v60, 0
	v_readlane_b32 s84, v62, 6
	s_mov_b64 s[4:5], -1
	v_mov_b32_e32 v61, 0
	v_readlane_b32 s85, v62, 7
	flat_store_dword v[0:1], v55 offset:4
	flat_load_dword v1, v[53:54] offset:4
	v_mov_b32_e32 v0, 0
	buffer_store_dword v0, off, s[0:3], s33 offset:60
	s_waitcnt vmcnt(0) lgkmcnt(0)
	v_mov_b32_e32 v46, v1
	v_cmp_lt_i32_e64 s[26:27], 0, v1
	s_and_saveexec_b64 s[28:29], s[26:27]
	s_cbranch_execz .LBB6_963
; %bb.812:
	flat_load_dword v0, v[44:45]
	s_movk_i32 s4, 0x2001
	v_mov_b32_e32 v60, 0
	v_mov_b32_e32 v61, 0
	s_mov_b64 s[40:41], 0
	s_waitcnt vmcnt(0) lgkmcnt(0)
	v_add_u32_e32 v0, v0, v46
	v_cmp_gt_i32_e32 vcc, s4, v0
	s_and_saveexec_b64 s[4:5], vcc
	s_xor_b64 s[4:5], exec, s[4:5]
	s_cbranch_execz .LBB6_814
; %bb.813:
	v_ashrrev_i32_e32 v1, 31, v0
	flat_store_dword v[44:45], v0
	v_lshlrev_b64 v[0:1], 2, v[0:1]
	s_mov_b64 s[40:41], exec
	v_add_co_u32_e32 v2, vcc, v44, v0
	v_addc_co_u32_e32 v3, vcc, v45, v1, vcc
	v_mov_b32_e32 v0, v46
	v_mov_b32_e32 v1, 0
	v_lshlrev_b64 v[0:1], 2, v[0:1]
	v_sub_co_u32_e32 v0, vcc, v2, v0
	v_subb_co_u32_e32 v1, vcc, v3, v1, vcc
	v_add_co_u32_e32 v60, vcc, 4, v0
	v_addc_co_u32_e32 v61, vcc, 0, v1, vcc
.LBB6_814:
	s_or_saveexec_b64 s[42:43], s[4:5]
	v_readlane_b32 s4, v62, 6
	v_readlane_b32 s5, v62, 7
	s_xor_b64 exec, exec, s[42:43]
	s_cbranch_execz .LBB6_962
; %bb.815:
	s_load_dwordx2 s[6:7], s[64:65], 0x50
	v_mbcnt_lo_u32_b32 v0, -1, 0
	v_mbcnt_hi_u32_b32 v30, -1, v0
	v_readfirstlane_b32 s4, v30
	v_mov_b32_e32 v5, 0
	v_mov_b32_e32 v6, 0
	v_cmp_eq_u32_e64 s[4:5], s4, v30
	s_and_saveexec_b64 s[8:9], s[4:5]
	s_cbranch_execz .LBB6_821
; %bb.816:
	v_mov_b32_e32 v0, 0
	s_waitcnt lgkmcnt(0)
	global_load_dwordx2 v[3:4], v0, s[6:7] offset:24 glc
	s_waitcnt vmcnt(0)
	buffer_wbinvl1_vol
	global_load_dwordx2 v[1:2], v0, s[6:7] offset:40
	global_load_dwordx2 v[5:6], v0, s[6:7]
	s_waitcnt vmcnt(1)
	v_and_b32_e32 v1, v1, v3
	v_and_b32_e32 v2, v2, v4
	v_mul_lo_u32 v2, v2, 24
	v_mul_hi_u32 v7, v1, 24
	v_mul_lo_u32 v1, v1, 24
	v_add_u32_e32 v2, v7, v2
	s_waitcnt vmcnt(0)
	v_add_co_u32_e32 v1, vcc, v5, v1
	v_addc_co_u32_e32 v2, vcc, v6, v2, vcc
	global_load_dwordx2 v[1:2], v[1:2], off glc
	s_waitcnt vmcnt(0)
	global_atomic_cmpswap_x2 v[5:6], v0, v[1:4], s[6:7] offset:24 glc
	s_waitcnt vmcnt(0)
	buffer_wbinvl1_vol
	v_cmp_ne_u64_e32 vcc, v[5:6], v[3:4]
	s_and_saveexec_b64 s[10:11], vcc
	s_cbranch_execz .LBB6_820
; %bb.817:
	s_mov_b64 s[12:13], 0
.LBB6_818:                              ; =>This Inner Loop Header: Depth=1
	s_sleep 1
	global_load_dwordx2 v[1:2], v0, s[6:7] offset:40
	global_load_dwordx2 v[7:8], v0, s[6:7]
	v_mov_b32_e32 v3, v5
	v_mov_b32_e32 v4, v6
	s_waitcnt vmcnt(1)
	v_and_b32_e32 v1, v1, v3
	s_waitcnt vmcnt(0)
	v_mad_u64_u32 v[5:6], s[14:15], v1, 24, v[7:8]
	v_and_b32_e32 v2, v2, v4
	v_mov_b32_e32 v1, v6
	v_mad_u64_u32 v[1:2], s[14:15], v2, 24, v[1:2]
	v_mov_b32_e32 v6, v1
	global_load_dwordx2 v[1:2], v[5:6], off glc
	s_waitcnt vmcnt(0)
	global_atomic_cmpswap_x2 v[5:6], v0, v[1:4], s[6:7] offset:24 glc
	s_waitcnt vmcnt(0)
	buffer_wbinvl1_vol
	v_cmp_eq_u64_e32 vcc, v[5:6], v[3:4]
	s_or_b64 s[12:13], vcc, s[12:13]
	s_andn2_b64 exec, exec, s[12:13]
	s_cbranch_execnz .LBB6_818
; %bb.819:
	s_or_b64 exec, exec, s[12:13]
.LBB6_820:
	s_or_b64 exec, exec, s[10:11]
.LBB6_821:
	s_or_b64 exec, exec, s[8:9]
	v_mov_b32_e32 v4, 0
	s_waitcnt lgkmcnt(0)
	global_load_dwordx2 v[7:8], v4, s[6:7] offset:40
	global_load_dwordx4 v[0:3], v4, s[6:7]
	v_readfirstlane_b32 s9, v6
	v_readfirstlane_b32 s8, v5
	s_mov_b64 s[10:11], exec
	s_waitcnt vmcnt(0)
	v_readfirstlane_b32 s12, v7
	v_readfirstlane_b32 s13, v8
	s_and_b64 s[12:13], s[12:13], s[8:9]
	s_mul_i32 s14, s13, 24
	s_mul_hi_u32 s15, s12, 24
	s_mul_i32 s16, s12, 24
	s_add_i32 s14, s15, s14
	v_mov_b32_e32 v5, s14
	v_add_co_u32_e32 v7, vcc, s16, v0
	v_addc_co_u32_e32 v8, vcc, v1, v5, vcc
	s_and_saveexec_b64 s[14:15], s[4:5]
	s_cbranch_execz .LBB6_823
; %bb.822:
	v_mov_b32_e32 v9, s10
	v_mov_b32_e32 v10, s11
	v_mov_b32_e32 v11, 2
	v_mov_b32_e32 v12, 1
	global_store_dwordx4 v[7:8], v[9:12], off offset:8
.LBB6_823:
	s_or_b64 exec, exec, s[14:15]
	s_lshl_b64 s[10:11], s[12:13], 12
	v_mov_b32_e32 v5, s11
	v_add_co_u32_e32 v2, vcc, s10, v2
	v_addc_co_u32_e32 v11, vcc, v3, v5, vcc
	v_lshlrev_b32_e32 v29, 6, v30
	s_mov_b32 s12, 0
	v_mov_b32_e32 v3, 33
	v_mov_b32_e32 v5, v4
	;; [unrolled: 1-line block ×3, first 2 shown]
	v_readfirstlane_b32 s10, v2
	v_readfirstlane_b32 s11, v11
	v_add_co_u32_e32 v9, vcc, v2, v29
	s_mov_b32 s13, s12
	s_mov_b32 s14, s12
	;; [unrolled: 1-line block ×3, first 2 shown]
	s_nop 0
	global_store_dwordx4 v29, v[3:6], s[10:11]
	v_mov_b32_e32 v2, s12
	v_addc_co_u32_e32 v10, vcc, 0, v11, vcc
	v_mov_b32_e32 v3, s13
	v_mov_b32_e32 v4, s14
	;; [unrolled: 1-line block ×3, first 2 shown]
	global_store_dwordx4 v29, v[2:5], s[10:11] offset:16
	global_store_dwordx4 v29, v[2:5], s[10:11] offset:32
	;; [unrolled: 1-line block ×3, first 2 shown]
	s_and_saveexec_b64 s[10:11], s[4:5]
	s_cbranch_execz .LBB6_831
; %bb.824:
	v_mov_b32_e32 v6, 0
	global_load_dwordx2 v[13:14], v6, s[6:7] offset:32 glc
	global_load_dwordx2 v[2:3], v6, s[6:7] offset:40
	v_mov_b32_e32 v11, s8
	v_mov_b32_e32 v12, s9
	s_waitcnt vmcnt(0)
	v_and_b32_e32 v2, s8, v2
	v_and_b32_e32 v3, s9, v3
	v_mul_lo_u32 v3, v3, 24
	v_mul_hi_u32 v4, v2, 24
	v_mul_lo_u32 v2, v2, 24
	v_add_u32_e32 v3, v4, v3
	v_add_co_u32_e32 v4, vcc, v0, v2
	v_addc_co_u32_e32 v5, vcc, v1, v3, vcc
	global_store_dwordx2 v[4:5], v[13:14], off
	s_waitcnt vmcnt(0)
	global_atomic_cmpswap_x2 v[2:3], v6, v[11:14], s[6:7] offset:32 glc
	s_waitcnt vmcnt(0)
	v_cmp_ne_u64_e32 vcc, v[2:3], v[13:14]
	s_and_saveexec_b64 s[12:13], vcc
	s_cbranch_execz .LBB6_827
; %bb.825:
	s_mov_b64 s[14:15], 0
.LBB6_826:                              ; =>This Inner Loop Header: Depth=1
	s_sleep 1
	global_store_dwordx2 v[4:5], v[2:3], off
	v_mov_b32_e32 v0, s8
	v_mov_b32_e32 v1, s9
	s_waitcnt vmcnt(0)
	global_atomic_cmpswap_x2 v[0:1], v6, v[0:3], s[6:7] offset:32 glc
	s_waitcnt vmcnt(0)
	v_cmp_eq_u64_e32 vcc, v[0:1], v[2:3]
	v_mov_b32_e32 v3, v1
	s_or_b64 s[14:15], vcc, s[14:15]
	v_mov_b32_e32 v2, v0
	s_andn2_b64 exec, exec, s[14:15]
	s_cbranch_execnz .LBB6_826
.LBB6_827:
	s_or_b64 exec, exec, s[12:13]
	v_mov_b32_e32 v3, 0
	global_load_dwordx2 v[0:1], v3, s[6:7] offset:16
	s_mov_b64 s[12:13], exec
	v_mbcnt_lo_u32_b32 v2, s12, 0
	v_mbcnt_hi_u32_b32 v2, s13, v2
	v_cmp_eq_u32_e32 vcc, 0, v2
	s_and_saveexec_b64 s[14:15], vcc
	s_cbranch_execz .LBB6_829
; %bb.828:
	s_bcnt1_i32_b64 s12, s[12:13]
	v_mov_b32_e32 v2, s12
	s_waitcnt vmcnt(0)
	global_atomic_add_x2 v[0:1], v[2:3], off offset:8
.LBB6_829:
	s_or_b64 exec, exec, s[14:15]
	s_waitcnt vmcnt(0)
	global_load_dwordx2 v[2:3], v[0:1], off offset:16
	s_waitcnt vmcnt(0)
	v_cmp_eq_u64_e32 vcc, 0, v[2:3]
	s_cbranch_vccnz .LBB6_831
; %bb.830:
	global_load_dword v0, v[0:1], off offset:24
	v_mov_b32_e32 v1, 0
	s_waitcnt vmcnt(0)
	v_readfirstlane_b32 s12, v0
	s_and_b32 m0, s12, 0xffffff
	global_store_dwordx2 v[2:3], v[0:1], off
	s_sendmsg sendmsg(MSG_INTERRUPT)
.LBB6_831:
	s_or_b64 exec, exec, s[10:11]
	s_branch .LBB6_835
.LBB6_832:                              ;   in Loop: Header=BB6_835 Depth=1
	s_or_b64 exec, exec, s[10:11]
	v_readfirstlane_b32 s10, v0
	s_cmp_eq_u32 s10, 0
	s_cbranch_scc1 .LBB6_834
; %bb.833:                              ;   in Loop: Header=BB6_835 Depth=1
	s_sleep 1
	s_cbranch_execnz .LBB6_835
	s_branch .LBB6_837
.LBB6_834:
	s_branch .LBB6_837
.LBB6_835:                              ; =>This Inner Loop Header: Depth=1
	v_mov_b32_e32 v0, 1
	s_and_saveexec_b64 s[10:11], s[4:5]
	s_cbranch_execz .LBB6_832
; %bb.836:                              ;   in Loop: Header=BB6_835 Depth=1
	global_load_dword v0, v[7:8], off offset:20 glc
	s_waitcnt vmcnt(0)
	buffer_wbinvl1_vol
	v_and_b32_e32 v0, 1, v0
	s_branch .LBB6_832
.LBB6_837:
	global_load_dwordx2 v[0:1], v[9:10], off
	s_and_saveexec_b64 s[10:11], s[4:5]
	s_cbranch_execz .LBB6_840
; %bb.838:
	v_mov_b32_e32 v8, 0
	global_load_dwordx2 v[2:3], v8, s[6:7] offset:40
	global_load_dwordx2 v[11:12], v8, s[6:7] offset:24 glc
	global_load_dwordx2 v[4:5], v8, s[6:7]
	s_waitcnt vmcnt(2)
	v_readfirstlane_b32 s12, v2
	v_readfirstlane_b32 s13, v3
	s_add_u32 s14, s12, 1
	s_addc_u32 s15, s13, 0
	s_add_u32 s4, s14, s8
	s_addc_u32 s5, s15, s9
	s_cmp_eq_u64 s[4:5], 0
	s_cselect_b32 s5, s15, s5
	s_cselect_b32 s4, s14, s4
	s_and_b64 s[8:9], s[4:5], s[12:13]
	s_mul_i32 s9, s9, 24
	s_mul_hi_u32 s12, s8, 24
	s_mul_i32 s8, s8, 24
	s_add_i32 s9, s12, s9
	v_mov_b32_e32 v2, s9
	s_waitcnt vmcnt(0)
	v_add_co_u32_e32 v6, vcc, s8, v4
	v_addc_co_u32_e32 v7, vcc, v5, v2, vcc
	v_mov_b32_e32 v9, s4
	global_store_dwordx2 v[6:7], v[11:12], off
	v_mov_b32_e32 v10, s5
	s_waitcnt vmcnt(0)
	global_atomic_cmpswap_x2 v[4:5], v8, v[9:12], s[6:7] offset:24 glc
	s_mov_b64 s[8:9], 0
	s_waitcnt vmcnt(0)
	v_cmp_ne_u64_e32 vcc, v[4:5], v[11:12]
	s_and_b64 exec, exec, vcc
	s_cbranch_execz .LBB6_840
.LBB6_839:                              ; =>This Inner Loop Header: Depth=1
	s_sleep 1
	global_store_dwordx2 v[6:7], v[4:5], off
	v_mov_b32_e32 v2, s4
	v_mov_b32_e32 v3, s5
	s_waitcnt vmcnt(0)
	global_atomic_cmpswap_x2 v[2:3], v8, v[2:5], s[6:7] offset:24 glc
	s_waitcnt vmcnt(0)
	v_cmp_eq_u64_e32 vcc, v[2:3], v[4:5]
	v_mov_b32_e32 v5, v3
	s_or_b64 s[8:9], vcc, s[8:9]
	v_mov_b32_e32 v4, v2
	s_andn2_b64 exec, exec, s[8:9]
	s_cbranch_execnz .LBB6_839
.LBB6_840:
	s_or_b64 exec, exec, s[10:11]
	s_getpc_b64 s[8:9]
	s_add_u32 s8, s8, .str.28@rel32@lo+4
	s_addc_u32 s9, s9, .str.28@rel32@hi+12
	s_cmp_lg_u64 s[8:9], 0
	s_cbranch_scc0 .LBB6_933
; %bb.841:
	s_waitcnt vmcnt(0)
	v_and_b32_e32 v6, -3, v0
	v_mov_b32_e32 v7, v1
	s_mov_b64 s[10:11], 35
	v_mov_b32_e32 v26, 0
	v_mov_b32_e32 v4, 2
	;; [unrolled: 1-line block ×3, first 2 shown]
	s_branch .LBB6_843
.LBB6_842:                              ;   in Loop: Header=BB6_843 Depth=1
	s_or_b64 exec, exec, s[16:17]
	s_sub_u32 s10, s10, s12
	s_subb_u32 s11, s11, s13
	s_add_u32 s8, s8, s12
	s_addc_u32 s9, s9, s13
	s_cmp_lg_u64 s[10:11], 0
	s_cbranch_scc0 .LBB6_932
.LBB6_843:                              ; =>This Loop Header: Depth=1
                                        ;     Child Loop BB6_846 Depth 2
                                        ;     Child Loop BB6_855 Depth 2
                                        ;     Child Loop BB6_864 Depth 2
                                        ;     Child Loop BB6_873 Depth 2
                                        ;     Child Loop BB6_882 Depth 2
                                        ;     Child Loop BB6_891 Depth 2
                                        ;     Child Loop BB6_900 Depth 2
                                        ;     Child Loop BB6_909 Depth 2
                                        ;     Child Loop BB6_917 Depth 2
                                        ;     Child Loop BB6_926 Depth 2
                                        ;     Child Loop BB6_931 Depth 2
	v_cmp_lt_u64_e64 s[4:5], s[10:11], 56
	v_cmp_gt_u64_e64 s[14:15], s[10:11], 7
	s_and_b64 s[4:5], s[4:5], exec
	s_cselect_b32 s13, s11, 0
	s_cselect_b32 s12, s10, 56
	s_add_u32 s4, s8, 8
	s_addc_u32 s5, s9, 0
	s_and_b64 vcc, exec, s[14:15]
	s_cbranch_vccnz .LBB6_847
; %bb.844:                              ;   in Loop: Header=BB6_843 Depth=1
	s_cmp_eq_u64 s[10:11], 0
	s_cbranch_scc1 .LBB6_848
; %bb.845:                              ;   in Loop: Header=BB6_843 Depth=1
	s_waitcnt vmcnt(0)
	v_mov_b32_e32 v8, 0
	s_lshl_b64 s[4:5], s[12:13], 3
	s_mov_b64 s[14:15], 0
	v_mov_b32_e32 v9, 0
	s_mov_b64 s[16:17], s[8:9]
.LBB6_846:                              ;   Parent Loop BB6_843 Depth=1
                                        ; =>  This Inner Loop Header: Depth=2
	global_load_ubyte v2, v26, s[16:17]
	s_waitcnt vmcnt(0)
	v_and_b32_e32 v25, 0xffff, v2
	v_lshlrev_b64 v[2:3], s14, v[25:26]
	s_add_u32 s14, s14, 8
	s_addc_u32 s15, s15, 0
	s_add_u32 s16, s16, 1
	s_addc_u32 s17, s17, 0
	v_or_b32_e32 v8, v2, v8
	s_cmp_lg_u32 s4, s14
	v_or_b32_e32 v9, v3, v9
	s_cbranch_scc1 .LBB6_846
	s_branch .LBB6_849
.LBB6_847:                              ;   in Loop: Header=BB6_843 Depth=1
	s_mov_b64 s[14:15], -1
	s_branch .LBB6_850
.LBB6_848:                              ;   in Loop: Header=BB6_843 Depth=1
	s_waitcnt vmcnt(0)
	v_mov_b32_e32 v8, 0
	v_mov_b32_e32 v9, 0
.LBB6_849:                              ;   in Loop: Header=BB6_843 Depth=1
	s_mov_b64 s[14:15], 0
	s_mov_b64 s[4:5], s[8:9]
.LBB6_850:                              ;   in Loop: Header=BB6_843 Depth=1
	s_andn2_b64 vcc, exec, s[14:15]
	s_mov_b32 s18, 0
	s_cbranch_vccnz .LBB6_852
; %bb.851:                              ;   in Loop: Header=BB6_843 Depth=1
	global_load_dwordx2 v[8:9], v26, s[8:9]
	s_add_i32 s18, s12, -8
.LBB6_852:                              ;   in Loop: Header=BB6_843 Depth=1
	s_add_u32 s14, s4, 8
	s_addc_u32 s15, s5, 0
	s_cmp_gt_u32 s18, 7
	s_cbranch_scc1 .LBB6_856
; %bb.853:                              ;   in Loop: Header=BB6_843 Depth=1
	s_cmp_eq_u32 s18, 0
	s_cbranch_scc1 .LBB6_857
; %bb.854:                              ;   in Loop: Header=BB6_843 Depth=1
	v_mov_b32_e32 v10, 0
	s_mov_b64 s[14:15], 0
	v_mov_b32_e32 v11, 0
	s_mov_b64 s[16:17], 0
.LBB6_855:                              ;   Parent Loop BB6_843 Depth=1
                                        ; =>  This Inner Loop Header: Depth=2
	s_add_u32 s20, s4, s16
	s_addc_u32 s21, s5, s17
	global_load_ubyte v2, v26, s[20:21]
	s_add_u32 s16, s16, 1
	s_addc_u32 s17, s17, 0
	s_waitcnt vmcnt(0)
	v_and_b32_e32 v25, 0xffff, v2
	v_lshlrev_b64 v[2:3], s14, v[25:26]
	s_add_u32 s14, s14, 8
	s_addc_u32 s15, s15, 0
	v_or_b32_e32 v10, v2, v10
	s_cmp_lg_u32 s18, s16
	v_or_b32_e32 v11, v3, v11
	s_cbranch_scc1 .LBB6_855
	s_branch .LBB6_858
.LBB6_856:                              ;   in Loop: Header=BB6_843 Depth=1
	s_mov_b64 s[16:17], -1
                                        ; implicit-def: $vgpr10_vgpr11
	s_branch .LBB6_859
.LBB6_857:                              ;   in Loop: Header=BB6_843 Depth=1
	v_mov_b32_e32 v10, 0
	v_mov_b32_e32 v11, 0
.LBB6_858:                              ;   in Loop: Header=BB6_843 Depth=1
	s_mov_b64 s[16:17], 0
	s_mov_b64 s[14:15], s[4:5]
.LBB6_859:                              ;   in Loop: Header=BB6_843 Depth=1
	s_andn2_b64 vcc, exec, s[16:17]
	s_mov_b32 s19, 0
	s_cbranch_vccnz .LBB6_861
; %bb.860:                              ;   in Loop: Header=BB6_843 Depth=1
	global_load_dwordx2 v[10:11], v26, s[4:5]
	s_add_i32 s19, s18, -8
.LBB6_861:                              ;   in Loop: Header=BB6_843 Depth=1
	s_add_u32 s4, s14, 8
	s_addc_u32 s5, s15, 0
	s_cmp_gt_u32 s19, 7
	s_cbranch_scc1 .LBB6_865
; %bb.862:                              ;   in Loop: Header=BB6_843 Depth=1
	s_cmp_eq_u32 s19, 0
	s_cbranch_scc1 .LBB6_866
; %bb.863:                              ;   in Loop: Header=BB6_843 Depth=1
	v_mov_b32_e32 v12, 0
	s_mov_b64 s[4:5], 0
	v_mov_b32_e32 v13, 0
	s_mov_b64 s[16:17], 0
.LBB6_864:                              ;   Parent Loop BB6_843 Depth=1
                                        ; =>  This Inner Loop Header: Depth=2
	s_add_u32 s20, s14, s16
	s_addc_u32 s21, s15, s17
	global_load_ubyte v2, v26, s[20:21]
	s_add_u32 s16, s16, 1
	s_addc_u32 s17, s17, 0
	s_waitcnt vmcnt(0)
	v_and_b32_e32 v25, 0xffff, v2
	v_lshlrev_b64 v[2:3], s4, v[25:26]
	s_add_u32 s4, s4, 8
	s_addc_u32 s5, s5, 0
	v_or_b32_e32 v12, v2, v12
	s_cmp_lg_u32 s19, s16
	v_or_b32_e32 v13, v3, v13
	s_cbranch_scc1 .LBB6_864
	s_branch .LBB6_867
.LBB6_865:                              ;   in Loop: Header=BB6_843 Depth=1
	s_mov_b64 s[16:17], -1
	s_branch .LBB6_868
.LBB6_866:                              ;   in Loop: Header=BB6_843 Depth=1
	v_mov_b32_e32 v12, 0
	v_mov_b32_e32 v13, 0
.LBB6_867:                              ;   in Loop: Header=BB6_843 Depth=1
	s_mov_b64 s[16:17], 0
	s_mov_b64 s[4:5], s[14:15]
.LBB6_868:                              ;   in Loop: Header=BB6_843 Depth=1
	s_andn2_b64 vcc, exec, s[16:17]
	s_mov_b32 s18, 0
	s_cbranch_vccnz .LBB6_870
; %bb.869:                              ;   in Loop: Header=BB6_843 Depth=1
	global_load_dwordx2 v[12:13], v26, s[14:15]
	s_add_i32 s18, s19, -8
.LBB6_870:                              ;   in Loop: Header=BB6_843 Depth=1
	s_add_u32 s14, s4, 8
	s_addc_u32 s15, s5, 0
	s_cmp_gt_u32 s18, 7
	s_cbranch_scc1 .LBB6_874
; %bb.871:                              ;   in Loop: Header=BB6_843 Depth=1
	s_cmp_eq_u32 s18, 0
	s_cbranch_scc1 .LBB6_875
; %bb.872:                              ;   in Loop: Header=BB6_843 Depth=1
	v_mov_b32_e32 v14, 0
	s_mov_b64 s[14:15], 0
	v_mov_b32_e32 v15, 0
	s_mov_b64 s[16:17], 0
.LBB6_873:                              ;   Parent Loop BB6_843 Depth=1
                                        ; =>  This Inner Loop Header: Depth=2
	s_add_u32 s20, s4, s16
	s_addc_u32 s21, s5, s17
	global_load_ubyte v2, v26, s[20:21]
	s_add_u32 s16, s16, 1
	s_addc_u32 s17, s17, 0
	s_waitcnt vmcnt(0)
	v_and_b32_e32 v25, 0xffff, v2
	v_lshlrev_b64 v[2:3], s14, v[25:26]
	s_add_u32 s14, s14, 8
	s_addc_u32 s15, s15, 0
	v_or_b32_e32 v14, v2, v14
	s_cmp_lg_u32 s18, s16
	v_or_b32_e32 v15, v3, v15
	s_cbranch_scc1 .LBB6_873
	s_branch .LBB6_876
.LBB6_874:                              ;   in Loop: Header=BB6_843 Depth=1
	s_mov_b64 s[16:17], -1
                                        ; implicit-def: $vgpr14_vgpr15
	s_branch .LBB6_877
.LBB6_875:                              ;   in Loop: Header=BB6_843 Depth=1
	v_mov_b32_e32 v14, 0
	v_mov_b32_e32 v15, 0
.LBB6_876:                              ;   in Loop: Header=BB6_843 Depth=1
	s_mov_b64 s[16:17], 0
	s_mov_b64 s[14:15], s[4:5]
.LBB6_877:                              ;   in Loop: Header=BB6_843 Depth=1
	s_andn2_b64 vcc, exec, s[16:17]
	s_mov_b32 s19, 0
	s_cbranch_vccnz .LBB6_879
; %bb.878:                              ;   in Loop: Header=BB6_843 Depth=1
	global_load_dwordx2 v[14:15], v26, s[4:5]
	s_add_i32 s19, s18, -8
.LBB6_879:                              ;   in Loop: Header=BB6_843 Depth=1
	s_add_u32 s4, s14, 8
	s_addc_u32 s5, s15, 0
	s_cmp_gt_u32 s19, 7
	s_cbranch_scc1 .LBB6_883
; %bb.880:                              ;   in Loop: Header=BB6_843 Depth=1
	s_cmp_eq_u32 s19, 0
	s_cbranch_scc1 .LBB6_884
; %bb.881:                              ;   in Loop: Header=BB6_843 Depth=1
	v_mov_b32_e32 v16, 0
	s_mov_b64 s[4:5], 0
	v_mov_b32_e32 v17, 0
	s_mov_b64 s[16:17], 0
.LBB6_882:                              ;   Parent Loop BB6_843 Depth=1
                                        ; =>  This Inner Loop Header: Depth=2
	s_add_u32 s20, s14, s16
	s_addc_u32 s21, s15, s17
	global_load_ubyte v2, v26, s[20:21]
	s_add_u32 s16, s16, 1
	s_addc_u32 s17, s17, 0
	s_waitcnt vmcnt(0)
	v_and_b32_e32 v25, 0xffff, v2
	v_lshlrev_b64 v[2:3], s4, v[25:26]
	s_add_u32 s4, s4, 8
	s_addc_u32 s5, s5, 0
	v_or_b32_e32 v16, v2, v16
	s_cmp_lg_u32 s19, s16
	v_or_b32_e32 v17, v3, v17
	s_cbranch_scc1 .LBB6_882
	s_branch .LBB6_885
.LBB6_883:                              ;   in Loop: Header=BB6_843 Depth=1
	s_mov_b64 s[16:17], -1
	s_branch .LBB6_886
.LBB6_884:                              ;   in Loop: Header=BB6_843 Depth=1
	v_mov_b32_e32 v16, 0
	v_mov_b32_e32 v17, 0
.LBB6_885:                              ;   in Loop: Header=BB6_843 Depth=1
	s_mov_b64 s[16:17], 0
	s_mov_b64 s[4:5], s[14:15]
.LBB6_886:                              ;   in Loop: Header=BB6_843 Depth=1
	s_andn2_b64 vcc, exec, s[16:17]
	s_mov_b32 s18, 0
	s_cbranch_vccnz .LBB6_888
; %bb.887:                              ;   in Loop: Header=BB6_843 Depth=1
	global_load_dwordx2 v[16:17], v26, s[14:15]
	s_add_i32 s18, s19, -8
.LBB6_888:                              ;   in Loop: Header=BB6_843 Depth=1
	s_add_u32 s14, s4, 8
	s_addc_u32 s15, s5, 0
	s_cmp_gt_u32 s18, 7
	s_cbranch_scc1 .LBB6_892
; %bb.889:                              ;   in Loop: Header=BB6_843 Depth=1
	s_cmp_eq_u32 s18, 0
	s_cbranch_scc1 .LBB6_893
; %bb.890:                              ;   in Loop: Header=BB6_843 Depth=1
	v_mov_b32_e32 v18, 0
	s_mov_b64 s[14:15], 0
	v_mov_b32_e32 v19, 0
	s_mov_b64 s[16:17], 0
.LBB6_891:                              ;   Parent Loop BB6_843 Depth=1
                                        ; =>  This Inner Loop Header: Depth=2
	s_add_u32 s20, s4, s16
	s_addc_u32 s21, s5, s17
	global_load_ubyte v2, v26, s[20:21]
	s_add_u32 s16, s16, 1
	s_addc_u32 s17, s17, 0
	s_waitcnt vmcnt(0)
	v_and_b32_e32 v25, 0xffff, v2
	v_lshlrev_b64 v[2:3], s14, v[25:26]
	s_add_u32 s14, s14, 8
	s_addc_u32 s15, s15, 0
	v_or_b32_e32 v18, v2, v18
	s_cmp_lg_u32 s18, s16
	v_or_b32_e32 v19, v3, v19
	s_cbranch_scc1 .LBB6_891
	s_branch .LBB6_894
.LBB6_892:                              ;   in Loop: Header=BB6_843 Depth=1
	s_mov_b64 s[16:17], -1
                                        ; implicit-def: $vgpr18_vgpr19
	s_branch .LBB6_895
.LBB6_893:                              ;   in Loop: Header=BB6_843 Depth=1
	v_mov_b32_e32 v18, 0
	v_mov_b32_e32 v19, 0
.LBB6_894:                              ;   in Loop: Header=BB6_843 Depth=1
	s_mov_b64 s[16:17], 0
	s_mov_b64 s[14:15], s[4:5]
.LBB6_895:                              ;   in Loop: Header=BB6_843 Depth=1
	s_andn2_b64 vcc, exec, s[16:17]
	s_mov_b32 s19, 0
	s_cbranch_vccnz .LBB6_897
; %bb.896:                              ;   in Loop: Header=BB6_843 Depth=1
	global_load_dwordx2 v[18:19], v26, s[4:5]
	s_add_i32 s19, s18, -8
.LBB6_897:                              ;   in Loop: Header=BB6_843 Depth=1
	s_cmp_gt_u32 s19, 7
	s_cbranch_scc1 .LBB6_901
; %bb.898:                              ;   in Loop: Header=BB6_843 Depth=1
	s_cmp_eq_u32 s19, 0
	s_cbranch_scc1 .LBB6_902
; %bb.899:                              ;   in Loop: Header=BB6_843 Depth=1
	v_mov_b32_e32 v20, 0
	s_mov_b64 s[4:5], 0
	v_mov_b32_e32 v21, 0
	s_mov_b64 s[16:17], s[14:15]
.LBB6_900:                              ;   Parent Loop BB6_843 Depth=1
                                        ; =>  This Inner Loop Header: Depth=2
	global_load_ubyte v2, v26, s[16:17]
	s_add_i32 s19, s19, -1
	s_waitcnt vmcnt(0)
	v_and_b32_e32 v25, 0xffff, v2
	v_lshlrev_b64 v[2:3], s4, v[25:26]
	s_add_u32 s4, s4, 8
	s_addc_u32 s5, s5, 0
	s_add_u32 s16, s16, 1
	s_addc_u32 s17, s17, 0
	v_or_b32_e32 v20, v2, v20
	s_cmp_lg_u32 s19, 0
	v_or_b32_e32 v21, v3, v21
	s_cbranch_scc1 .LBB6_900
	s_branch .LBB6_903
.LBB6_901:                              ;   in Loop: Header=BB6_843 Depth=1
	s_mov_b64 s[4:5], -1
	s_branch .LBB6_904
.LBB6_902:                              ;   in Loop: Header=BB6_843 Depth=1
	v_mov_b32_e32 v20, 0
	v_mov_b32_e32 v21, 0
.LBB6_903:                              ;   in Loop: Header=BB6_843 Depth=1
	s_mov_b64 s[4:5], 0
.LBB6_904:                              ;   in Loop: Header=BB6_843 Depth=1
	s_andn2_b64 vcc, exec, s[4:5]
	s_cbranch_vccnz .LBB6_906
; %bb.905:                              ;   in Loop: Header=BB6_843 Depth=1
	global_load_dwordx2 v[20:21], v26, s[14:15]
.LBB6_906:                              ;   in Loop: Header=BB6_843 Depth=1
	v_readfirstlane_b32 s4, v30
	v_mov_b32_e32 v2, 0
	v_mov_b32_e32 v3, 0
	v_cmp_eq_u32_e64 s[4:5], s4, v30
	s_and_saveexec_b64 s[14:15], s[4:5]
	s_cbranch_execz .LBB6_912
; %bb.907:                              ;   in Loop: Header=BB6_843 Depth=1
	global_load_dwordx2 v[24:25], v26, s[6:7] offset:24 glc
	s_waitcnt vmcnt(0)
	buffer_wbinvl1_vol
	global_load_dwordx2 v[2:3], v26, s[6:7] offset:40
	global_load_dwordx2 v[22:23], v26, s[6:7]
	s_waitcnt vmcnt(1)
	v_and_b32_e32 v2, v2, v24
	v_and_b32_e32 v3, v3, v25
	v_mul_lo_u32 v3, v3, 24
	v_mul_hi_u32 v27, v2, 24
	v_mul_lo_u32 v2, v2, 24
	v_add_u32_e32 v3, v27, v3
	s_waitcnt vmcnt(0)
	v_add_co_u32_e32 v2, vcc, v22, v2
	v_addc_co_u32_e32 v3, vcc, v23, v3, vcc
	global_load_dwordx2 v[22:23], v[2:3], off glc
	s_waitcnt vmcnt(0)
	global_atomic_cmpswap_x2 v[2:3], v26, v[22:25], s[6:7] offset:24 glc
	s_waitcnt vmcnt(0)
	buffer_wbinvl1_vol
	v_cmp_ne_u64_e32 vcc, v[2:3], v[24:25]
	s_and_saveexec_b64 s[16:17], vcc
	s_cbranch_execz .LBB6_911
; %bb.908:                              ;   in Loop: Header=BB6_843 Depth=1
	s_mov_b64 s[18:19], 0
.LBB6_909:                              ;   Parent Loop BB6_843 Depth=1
                                        ; =>  This Inner Loop Header: Depth=2
	s_sleep 1
	global_load_dwordx2 v[22:23], v26, s[6:7] offset:40
	global_load_dwordx2 v[27:28], v26, s[6:7]
	v_mov_b32_e32 v25, v3
	v_mov_b32_e32 v24, v2
	s_waitcnt vmcnt(1)
	v_and_b32_e32 v2, v22, v24
	s_waitcnt vmcnt(0)
	v_mad_u64_u32 v[2:3], s[20:21], v2, 24, v[27:28]
	v_and_b32_e32 v22, v23, v25
	v_mad_u64_u32 v[22:23], s[20:21], v22, 24, v[3:4]
	v_mov_b32_e32 v3, v22
	global_load_dwordx2 v[22:23], v[2:3], off glc
	s_waitcnt vmcnt(0)
	global_atomic_cmpswap_x2 v[2:3], v26, v[22:25], s[6:7] offset:24 glc
	s_waitcnt vmcnt(0)
	buffer_wbinvl1_vol
	v_cmp_eq_u64_e32 vcc, v[2:3], v[24:25]
	s_or_b64 s[18:19], vcc, s[18:19]
	s_andn2_b64 exec, exec, s[18:19]
	s_cbranch_execnz .LBB6_909
; %bb.910:                              ;   in Loop: Header=BB6_843 Depth=1
	s_or_b64 exec, exec, s[18:19]
.LBB6_911:                              ;   in Loop: Header=BB6_843 Depth=1
	s_or_b64 exec, exec, s[16:17]
.LBB6_912:                              ;   in Loop: Header=BB6_843 Depth=1
	s_or_b64 exec, exec, s[14:15]
	global_load_dwordx2 v[27:28], v26, s[6:7] offset:40
	global_load_dwordx4 v[22:25], v26, s[6:7]
	v_readfirstlane_b32 s15, v3
	v_readfirstlane_b32 s14, v2
	s_mov_b64 s[16:17], exec
	s_waitcnt vmcnt(1)
	v_readfirstlane_b32 s18, v27
	v_readfirstlane_b32 s19, v28
	s_and_b64 s[18:19], s[18:19], s[14:15]
	s_mul_i32 s20, s19, 24
	s_mul_hi_u32 s21, s18, 24
	s_mul_i32 s22, s18, 24
	s_add_i32 s20, s21, s20
	v_mov_b32_e32 v2, s20
	s_waitcnt vmcnt(0)
	v_add_co_u32_e32 v27, vcc, s22, v22
	v_addc_co_u32_e32 v28, vcc, v23, v2, vcc
	s_and_saveexec_b64 s[20:21], s[4:5]
	s_cbranch_execz .LBB6_914
; %bb.913:                              ;   in Loop: Header=BB6_843 Depth=1
	v_mov_b32_e32 v2, s16
	v_mov_b32_e32 v3, s17
	global_store_dwordx4 v[27:28], v[2:5], off offset:8
.LBB6_914:                              ;   in Loop: Header=BB6_843 Depth=1
	s_or_b64 exec, exec, s[20:21]
	s_lshl_b64 s[16:17], s[18:19], 12
	v_cmp_gt_u64_e64 s[18:19], s[10:11], 56
	v_mov_b32_e32 v2, s17
	v_add_co_u32_e32 v24, vcc, s16, v24
	s_and_b64 s[16:17], s[18:19], exec
	s_cselect_b32 s16, 0, 2
	s_lshl_b32 s17, s12, 2
	v_addc_co_u32_e32 v31, vcc, v25, v2, vcc
	s_add_i32 s17, s17, 28
	v_and_b32_e32 v2, 0xffffff1f, v6
	s_and_b32 s17, s17, 0x1e0
	v_or_b32_e32 v2, s16, v2
	v_or_b32_e32 v6, s17, v2
	v_readfirstlane_b32 s16, v24
	v_readfirstlane_b32 s17, v31
	s_nop 4
	global_store_dwordx4 v29, v[6:9], s[16:17]
	global_store_dwordx4 v29, v[10:13], s[16:17] offset:16
	global_store_dwordx4 v29, v[14:17], s[16:17] offset:32
	;; [unrolled: 1-line block ×3, first 2 shown]
	s_and_saveexec_b64 s[16:17], s[4:5]
	s_cbranch_execz .LBB6_922
; %bb.915:                              ;   in Loop: Header=BB6_843 Depth=1
	global_load_dwordx2 v[10:11], v26, s[6:7] offset:32 glc
	global_load_dwordx2 v[2:3], v26, s[6:7] offset:40
	v_mov_b32_e32 v8, s14
	v_mov_b32_e32 v9, s15
	s_waitcnt vmcnt(0)
	v_readfirstlane_b32 s18, v2
	v_readfirstlane_b32 s19, v3
	s_and_b64 s[18:19], s[18:19], s[14:15]
	s_mul_i32 s19, s19, 24
	s_mul_hi_u32 s20, s18, 24
	s_mul_i32 s18, s18, 24
	s_add_i32 s19, s20, s19
	v_mov_b32_e32 v3, s19
	v_add_co_u32_e32 v2, vcc, s18, v22
	v_addc_co_u32_e32 v3, vcc, v23, v3, vcc
	global_store_dwordx2 v[2:3], v[10:11], off
	s_waitcnt vmcnt(0)
	global_atomic_cmpswap_x2 v[8:9], v26, v[8:11], s[6:7] offset:32 glc
	s_waitcnt vmcnt(0)
	v_cmp_ne_u64_e32 vcc, v[8:9], v[10:11]
	s_and_saveexec_b64 s[18:19], vcc
	s_cbranch_execz .LBB6_918
; %bb.916:                              ;   in Loop: Header=BB6_843 Depth=1
	s_mov_b64 s[20:21], 0
.LBB6_917:                              ;   Parent Loop BB6_843 Depth=1
                                        ; =>  This Inner Loop Header: Depth=2
	s_sleep 1
	global_store_dwordx2 v[2:3], v[8:9], off
	v_mov_b32_e32 v6, s14
	v_mov_b32_e32 v7, s15
	s_waitcnt vmcnt(0)
	global_atomic_cmpswap_x2 v[6:7], v26, v[6:9], s[6:7] offset:32 glc
	s_waitcnt vmcnt(0)
	v_cmp_eq_u64_e32 vcc, v[6:7], v[8:9]
	v_mov_b32_e32 v9, v7
	s_or_b64 s[20:21], vcc, s[20:21]
	v_mov_b32_e32 v8, v6
	s_andn2_b64 exec, exec, s[20:21]
	s_cbranch_execnz .LBB6_917
.LBB6_918:                              ;   in Loop: Header=BB6_843 Depth=1
	s_or_b64 exec, exec, s[18:19]
	global_load_dwordx2 v[2:3], v26, s[6:7] offset:16
	s_mov_b64 s[20:21], exec
	v_mbcnt_lo_u32_b32 v6, s20, 0
	v_mbcnt_hi_u32_b32 v6, s21, v6
	v_cmp_eq_u32_e32 vcc, 0, v6
	s_and_saveexec_b64 s[18:19], vcc
	s_cbranch_execz .LBB6_920
; %bb.919:                              ;   in Loop: Header=BB6_843 Depth=1
	s_bcnt1_i32_b64 s20, s[20:21]
	v_mov_b32_e32 v25, s20
	s_waitcnt vmcnt(0)
	global_atomic_add_x2 v[2:3], v[25:26], off offset:8
.LBB6_920:                              ;   in Loop: Header=BB6_843 Depth=1
	s_or_b64 exec, exec, s[18:19]
	s_waitcnt vmcnt(0)
	global_load_dwordx2 v[6:7], v[2:3], off offset:16
	s_waitcnt vmcnt(0)
	v_cmp_eq_u64_e32 vcc, 0, v[6:7]
	s_cbranch_vccnz .LBB6_922
; %bb.921:                              ;   in Loop: Header=BB6_843 Depth=1
	global_load_dword v25, v[2:3], off offset:24
	s_waitcnt vmcnt(0)
	v_readfirstlane_b32 s18, v25
	s_and_b32 m0, s18, 0xffffff
	global_store_dwordx2 v[6:7], v[25:26], off
	s_sendmsg sendmsg(MSG_INTERRUPT)
.LBB6_922:                              ;   in Loop: Header=BB6_843 Depth=1
	s_or_b64 exec, exec, s[16:17]
	v_add_co_u32_e32 v2, vcc, v24, v29
	v_addc_co_u32_e32 v3, vcc, 0, v31, vcc
	s_branch .LBB6_926
.LBB6_923:                              ;   in Loop: Header=BB6_926 Depth=2
	s_or_b64 exec, exec, s[16:17]
	v_readfirstlane_b32 s16, v6
	s_cmp_eq_u32 s16, 0
	s_cbranch_scc1 .LBB6_925
; %bb.924:                              ;   in Loop: Header=BB6_926 Depth=2
	s_sleep 1
	s_cbranch_execnz .LBB6_926
	s_branch .LBB6_928
.LBB6_925:                              ;   in Loop: Header=BB6_843 Depth=1
	s_branch .LBB6_928
.LBB6_926:                              ;   Parent Loop BB6_843 Depth=1
                                        ; =>  This Inner Loop Header: Depth=2
	v_mov_b32_e32 v6, 1
	s_and_saveexec_b64 s[16:17], s[4:5]
	s_cbranch_execz .LBB6_923
; %bb.927:                              ;   in Loop: Header=BB6_926 Depth=2
	global_load_dword v6, v[27:28], off offset:20 glc
	s_waitcnt vmcnt(0)
	buffer_wbinvl1_vol
	v_and_b32_e32 v6, 1, v6
	s_branch .LBB6_923
.LBB6_928:                              ;   in Loop: Header=BB6_843 Depth=1
	global_load_dwordx4 v[6:9], v[2:3], off
	s_and_saveexec_b64 s[16:17], s[4:5]
	s_cbranch_execz .LBB6_842
; %bb.929:                              ;   in Loop: Header=BB6_843 Depth=1
	global_load_dwordx2 v[2:3], v26, s[6:7] offset:40
	global_load_dwordx2 v[12:13], v26, s[6:7] offset:24 glc
	global_load_dwordx2 v[8:9], v26, s[6:7]
	s_waitcnt vmcnt(2)
	v_readfirstlane_b32 s18, v2
	v_readfirstlane_b32 s19, v3
	s_add_u32 s20, s18, 1
	s_addc_u32 s21, s19, 0
	s_add_u32 s4, s20, s14
	s_addc_u32 s5, s21, s15
	s_cmp_eq_u64 s[4:5], 0
	s_cselect_b32 s5, s21, s5
	s_cselect_b32 s4, s20, s4
	s_and_b64 s[14:15], s[4:5], s[18:19]
	s_mul_i32 s15, s15, 24
	s_mul_hi_u32 s18, s14, 24
	s_mul_i32 s14, s14, 24
	s_add_i32 s15, s18, s15
	v_mov_b32_e32 v3, s15
	s_waitcnt vmcnt(0)
	v_add_co_u32_e32 v2, vcc, s14, v8
	v_addc_co_u32_e32 v3, vcc, v9, v3, vcc
	v_mov_b32_e32 v10, s4
	global_store_dwordx2 v[2:3], v[12:13], off
	v_mov_b32_e32 v11, s5
	s_waitcnt vmcnt(0)
	global_atomic_cmpswap_x2 v[10:11], v26, v[10:13], s[6:7] offset:24 glc
	s_waitcnt vmcnt(0)
	v_cmp_ne_u64_e32 vcc, v[10:11], v[12:13]
	s_and_b64 exec, exec, vcc
	s_cbranch_execz .LBB6_842
; %bb.930:                              ;   in Loop: Header=BB6_843 Depth=1
	s_mov_b64 s[14:15], 0
.LBB6_931:                              ;   Parent Loop BB6_843 Depth=1
                                        ; =>  This Inner Loop Header: Depth=2
	s_sleep 1
	global_store_dwordx2 v[2:3], v[10:11], off
	v_mov_b32_e32 v8, s4
	v_mov_b32_e32 v9, s5
	s_waitcnt vmcnt(0)
	global_atomic_cmpswap_x2 v[8:9], v26, v[8:11], s[6:7] offset:24 glc
	s_waitcnt vmcnt(0)
	v_cmp_eq_u64_e32 vcc, v[8:9], v[10:11]
	v_mov_b32_e32 v11, v9
	s_or_b64 s[14:15], vcc, s[14:15]
	v_mov_b32_e32 v10, v8
	s_andn2_b64 exec, exec, s[14:15]
	s_cbranch_execnz .LBB6_931
	s_branch .LBB6_842
.LBB6_932:
	s_mov_b64 s[4:5], 0
	s_branch .LBB6_934
.LBB6_933:
	s_mov_b64 s[4:5], -1
.LBB6_934:
	s_and_b64 vcc, exec, s[4:5]
	s_cbranch_vccz .LBB6_961
; %bb.935:
	v_readfirstlane_b32 s4, v30
	s_waitcnt vmcnt(0)
	v_mov_b32_e32 v8, 0
	v_mov_b32_e32 v9, 0
	v_cmp_eq_u32_e64 s[4:5], s4, v30
	s_and_saveexec_b64 s[8:9], s[4:5]
	s_cbranch_execz .LBB6_941
; %bb.936:
	v_mov_b32_e32 v2, 0
	global_load_dwordx2 v[5:6], v2, s[6:7] offset:24 glc
	s_waitcnt vmcnt(0)
	buffer_wbinvl1_vol
	global_load_dwordx2 v[3:4], v2, s[6:7] offset:40
	global_load_dwordx2 v[7:8], v2, s[6:7]
	s_waitcnt vmcnt(1)
	v_and_b32_e32 v3, v3, v5
	v_and_b32_e32 v4, v4, v6
	v_mul_lo_u32 v4, v4, 24
	v_mul_hi_u32 v9, v3, 24
	v_mul_lo_u32 v3, v3, 24
	v_add_u32_e32 v4, v9, v4
	s_waitcnt vmcnt(0)
	v_add_co_u32_e32 v3, vcc, v7, v3
	v_addc_co_u32_e32 v4, vcc, v8, v4, vcc
	global_load_dwordx2 v[3:4], v[3:4], off glc
	s_waitcnt vmcnt(0)
	global_atomic_cmpswap_x2 v[8:9], v2, v[3:6], s[6:7] offset:24 glc
	s_waitcnt vmcnt(0)
	buffer_wbinvl1_vol
	v_cmp_ne_u64_e32 vcc, v[8:9], v[5:6]
	s_and_saveexec_b64 s[10:11], vcc
	s_cbranch_execz .LBB6_940
; %bb.937:
	s_mov_b64 s[12:13], 0
.LBB6_938:                              ; =>This Inner Loop Header: Depth=1
	s_sleep 1
	global_load_dwordx2 v[3:4], v2, s[6:7] offset:40
	global_load_dwordx2 v[10:11], v2, s[6:7]
	v_mov_b32_e32 v5, v8
	v_mov_b32_e32 v6, v9
	s_waitcnt vmcnt(1)
	v_and_b32_e32 v3, v3, v5
	s_waitcnt vmcnt(0)
	v_mad_u64_u32 v[7:8], s[14:15], v3, 24, v[10:11]
	v_and_b32_e32 v4, v4, v6
	v_mov_b32_e32 v3, v8
	v_mad_u64_u32 v[3:4], s[14:15], v4, 24, v[3:4]
	v_mov_b32_e32 v8, v3
	global_load_dwordx2 v[3:4], v[7:8], off glc
	s_waitcnt vmcnt(0)
	global_atomic_cmpswap_x2 v[8:9], v2, v[3:6], s[6:7] offset:24 glc
	s_waitcnt vmcnt(0)
	buffer_wbinvl1_vol
	v_cmp_eq_u64_e32 vcc, v[8:9], v[5:6]
	s_or_b64 s[12:13], vcc, s[12:13]
	s_andn2_b64 exec, exec, s[12:13]
	s_cbranch_execnz .LBB6_938
; %bb.939:
	s_or_b64 exec, exec, s[12:13]
.LBB6_940:
	s_or_b64 exec, exec, s[10:11]
.LBB6_941:
	s_or_b64 exec, exec, s[8:9]
	v_mov_b32_e32 v2, 0
	global_load_dwordx2 v[10:11], v2, s[6:7] offset:40
	global_load_dwordx4 v[4:7], v2, s[6:7]
	v_readfirstlane_b32 s9, v9
	v_readfirstlane_b32 s8, v8
	s_mov_b64 s[10:11], exec
	s_waitcnt vmcnt(1)
	v_readfirstlane_b32 s12, v10
	v_readfirstlane_b32 s13, v11
	s_and_b64 s[12:13], s[12:13], s[8:9]
	s_mul_i32 s14, s13, 24
	s_mul_hi_u32 s15, s12, 24
	s_mul_i32 s16, s12, 24
	s_add_i32 s14, s15, s14
	v_mov_b32_e32 v3, s14
	s_waitcnt vmcnt(0)
	v_add_co_u32_e32 v8, vcc, s16, v4
	v_addc_co_u32_e32 v9, vcc, v5, v3, vcc
	s_and_saveexec_b64 s[14:15], s[4:5]
	s_cbranch_execz .LBB6_943
; %bb.942:
	v_mov_b32_e32 v10, s10
	v_mov_b32_e32 v11, s11
	;; [unrolled: 1-line block ×4, first 2 shown]
	global_store_dwordx4 v[8:9], v[10:13], off offset:8
.LBB6_943:
	s_or_b64 exec, exec, s[14:15]
	s_lshl_b64 s[10:11], s[12:13], 12
	v_mov_b32_e32 v3, s11
	v_add_co_u32_e32 v6, vcc, s10, v6
	v_addc_co_u32_e32 v7, vcc, v7, v3, vcc
	s_movk_i32 s10, 0xff1d
	v_and_or_b32 v0, v0, s10, 34
	s_mov_b32 s12, 0
	v_mov_b32_e32 v3, v2
	v_readfirstlane_b32 s10, v6
	v_readfirstlane_b32 s11, v7
	s_mov_b32 s13, s12
	s_mov_b32 s14, s12
	;; [unrolled: 1-line block ×3, first 2 shown]
	s_nop 1
	global_store_dwordx4 v29, v[0:3], s[10:11]
	s_nop 0
	v_mov_b32_e32 v0, s12
	v_mov_b32_e32 v1, s13
	;; [unrolled: 1-line block ×4, first 2 shown]
	global_store_dwordx4 v29, v[0:3], s[10:11] offset:16
	global_store_dwordx4 v29, v[0:3], s[10:11] offset:32
	;; [unrolled: 1-line block ×3, first 2 shown]
	s_and_saveexec_b64 s[10:11], s[4:5]
	s_cbranch_execz .LBB6_951
; %bb.944:
	v_mov_b32_e32 v6, 0
	global_load_dwordx2 v[12:13], v6, s[6:7] offset:32 glc
	global_load_dwordx2 v[0:1], v6, s[6:7] offset:40
	v_mov_b32_e32 v10, s8
	v_mov_b32_e32 v11, s9
	s_waitcnt vmcnt(0)
	v_readfirstlane_b32 s12, v0
	v_readfirstlane_b32 s13, v1
	s_and_b64 s[12:13], s[12:13], s[8:9]
	s_mul_i32 s13, s13, 24
	s_mul_hi_u32 s14, s12, 24
	s_mul_i32 s12, s12, 24
	s_add_i32 s13, s14, s13
	v_mov_b32_e32 v0, s13
	v_add_co_u32_e32 v4, vcc, s12, v4
	v_addc_co_u32_e32 v5, vcc, v5, v0, vcc
	global_store_dwordx2 v[4:5], v[12:13], off
	s_waitcnt vmcnt(0)
	global_atomic_cmpswap_x2 v[2:3], v6, v[10:13], s[6:7] offset:32 glc
	s_waitcnt vmcnt(0)
	v_cmp_ne_u64_e32 vcc, v[2:3], v[12:13]
	s_and_saveexec_b64 s[12:13], vcc
	s_cbranch_execz .LBB6_947
; %bb.945:
	s_mov_b64 s[14:15], 0
.LBB6_946:                              ; =>This Inner Loop Header: Depth=1
	s_sleep 1
	global_store_dwordx2 v[4:5], v[2:3], off
	v_mov_b32_e32 v0, s8
	v_mov_b32_e32 v1, s9
	s_waitcnt vmcnt(0)
	global_atomic_cmpswap_x2 v[0:1], v6, v[0:3], s[6:7] offset:32 glc
	s_waitcnt vmcnt(0)
	v_cmp_eq_u64_e32 vcc, v[0:1], v[2:3]
	v_mov_b32_e32 v3, v1
	s_or_b64 s[14:15], vcc, s[14:15]
	v_mov_b32_e32 v2, v0
	s_andn2_b64 exec, exec, s[14:15]
	s_cbranch_execnz .LBB6_946
.LBB6_947:
	s_or_b64 exec, exec, s[12:13]
	v_mov_b32_e32 v3, 0
	global_load_dwordx2 v[0:1], v3, s[6:7] offset:16
	s_mov_b64 s[12:13], exec
	v_mbcnt_lo_u32_b32 v2, s12, 0
	v_mbcnt_hi_u32_b32 v2, s13, v2
	v_cmp_eq_u32_e32 vcc, 0, v2
	s_and_saveexec_b64 s[14:15], vcc
	s_cbranch_execz .LBB6_949
; %bb.948:
	s_bcnt1_i32_b64 s12, s[12:13]
	v_mov_b32_e32 v2, s12
	s_waitcnt vmcnt(0)
	global_atomic_add_x2 v[0:1], v[2:3], off offset:8
.LBB6_949:
	s_or_b64 exec, exec, s[14:15]
	s_waitcnt vmcnt(0)
	global_load_dwordx2 v[2:3], v[0:1], off offset:16
	s_waitcnt vmcnt(0)
	v_cmp_eq_u64_e32 vcc, 0, v[2:3]
	s_cbranch_vccnz .LBB6_951
; %bb.950:
	global_load_dword v0, v[0:1], off offset:24
	v_mov_b32_e32 v1, 0
	s_waitcnt vmcnt(0)
	v_readfirstlane_b32 s12, v0
	s_and_b32 m0, s12, 0xffffff
	global_store_dwordx2 v[2:3], v[0:1], off
	s_sendmsg sendmsg(MSG_INTERRUPT)
.LBB6_951:
	s_or_b64 exec, exec, s[10:11]
	s_branch .LBB6_955
.LBB6_952:                              ;   in Loop: Header=BB6_955 Depth=1
	s_or_b64 exec, exec, s[10:11]
	v_readfirstlane_b32 s10, v0
	s_cmp_eq_u32 s10, 0
	s_cbranch_scc1 .LBB6_954
; %bb.953:                              ;   in Loop: Header=BB6_955 Depth=1
	s_sleep 1
	s_cbranch_execnz .LBB6_955
	s_branch .LBB6_957
.LBB6_954:
	s_branch .LBB6_957
.LBB6_955:                              ; =>This Inner Loop Header: Depth=1
	v_mov_b32_e32 v0, 1
	s_and_saveexec_b64 s[10:11], s[4:5]
	s_cbranch_execz .LBB6_952
; %bb.956:                              ;   in Loop: Header=BB6_955 Depth=1
	global_load_dword v0, v[8:9], off offset:20 glc
	s_waitcnt vmcnt(0)
	buffer_wbinvl1_vol
	v_and_b32_e32 v0, 1, v0
	s_branch .LBB6_952
.LBB6_957:
	s_and_saveexec_b64 s[10:11], s[4:5]
	s_cbranch_execz .LBB6_960
; %bb.958:
	v_mov_b32_e32 v6, 0
	global_load_dwordx2 v[0:1], v6, s[6:7] offset:40
	global_load_dwordx2 v[9:10], v6, s[6:7] offset:24 glc
	global_load_dwordx2 v[2:3], v6, s[6:7]
	s_waitcnt vmcnt(2)
	v_readfirstlane_b32 s12, v0
	v_readfirstlane_b32 s13, v1
	s_add_u32 s14, s12, 1
	s_addc_u32 s15, s13, 0
	s_add_u32 s4, s14, s8
	s_addc_u32 s5, s15, s9
	s_cmp_eq_u64 s[4:5], 0
	s_cselect_b32 s5, s15, s5
	s_cselect_b32 s4, s14, s4
	s_and_b64 s[8:9], s[4:5], s[12:13]
	s_mul_i32 s9, s9, 24
	s_mul_hi_u32 s12, s8, 24
	s_mul_i32 s8, s8, 24
	s_add_i32 s9, s12, s9
	v_mov_b32_e32 v0, s9
	s_waitcnt vmcnt(0)
	v_add_co_u32_e32 v4, vcc, s8, v2
	v_addc_co_u32_e32 v5, vcc, v3, v0, vcc
	v_mov_b32_e32 v7, s4
	global_store_dwordx2 v[4:5], v[9:10], off
	v_mov_b32_e32 v8, s5
	s_waitcnt vmcnt(0)
	global_atomic_cmpswap_x2 v[2:3], v6, v[7:10], s[6:7] offset:24 glc
	s_mov_b64 s[8:9], 0
	s_waitcnt vmcnt(0)
	v_cmp_ne_u64_e32 vcc, v[2:3], v[9:10]
	s_and_b64 exec, exec, vcc
	s_cbranch_execz .LBB6_960
.LBB6_959:                              ; =>This Inner Loop Header: Depth=1
	s_sleep 1
	global_store_dwordx2 v[4:5], v[2:3], off
	v_mov_b32_e32 v0, s4
	v_mov_b32_e32 v1, s5
	s_waitcnt vmcnt(0)
	global_atomic_cmpswap_x2 v[0:1], v6, v[0:3], s[6:7] offset:24 glc
	s_waitcnt vmcnt(0)
	v_cmp_eq_u64_e32 vcc, v[0:1], v[2:3]
	v_mov_b32_e32 v3, v1
	s_or_b64 s[8:9], vcc, s[8:9]
	v_mov_b32_e32 v2, v0
	s_andn2_b64 exec, exec, s[8:9]
	s_cbranch_execnz .LBB6_959
.LBB6_960:
	s_or_b64 exec, exec, s[10:11]
.LBB6_961:
	s_getpc_b64 s[4:5]
	s_add_u32 s4, s4, .str.29@rel32@lo+4
	s_addc_u32 s5, s5, .str.29@rel32@hi+12
	s_getpc_b64 s[6:7]
	s_add_u32 s6, s6, .str.19@rel32@lo+4
	s_addc_u32 s7, s7, .str.19@rel32@hi+12
	s_getpc_b64 s[10:11]
	s_add_u32 s10, s10, __PRETTY_FUNCTION__._ZN7VecsMemIjLi8192EE5fetchEi@rel32@lo+4
	s_addc_u32 s11, s11, __PRETTY_FUNCTION__._ZN7VecsMemIjLi8192EE5fetchEi@rel32@hi+12
	s_getpc_b64 s[12:13]
	s_add_u32 s12, s12, __assert_fail@rel32@lo+4
	s_addc_u32 s13, s13, __assert_fail@rel32@hi+12
	s_mov_b64 s[8:9], s[64:65]
	s_waitcnt vmcnt(0)
	v_mov_b32_e32 v0, s4
	v_mov_b32_e32 v1, s5
	;; [unrolled: 1-line block ×7, first 2 shown]
	s_swappc_b64 s[30:31], s[12:13]
	v_readlane_b32 s4, v62, 6
	v_readlane_b32 s5, v62, 7
	s_or_b64 s[4:5], s[4:5], exec
.LBB6_962:
	s_or_b64 exec, exec, s[42:43]
	v_readlane_b32 s6, v62, 6
	v_readlane_b32 s7, v62, 7
	s_andn2_b64 s[6:7], s[6:7], exec
	s_and_b64 s[4:5], s[4:5], exec
	s_or_b64 s[84:85], s[6:7], s[4:5]
	s_orn2_b64 s[4:5], s[40:41], exec
.LBB6_963:
	s_or_b64 exec, exec, s[28:29]
	s_mov_b64 s[6:7], 0
                                        ; implicit-def: $vgpr41
	s_mov_b64 s[8:9], exec
	v_writelane_b32 v62, s8, 46
	v_writelane_b32 v62, s9, 47
	s_and_b64 s[4:5], s[8:9], s[4:5]
	s_mov_b64 exec, s[4:5]
	s_cbranch_execz .LBB6_1344
; %bb.964:
	v_mov_b32_e32 v0, 0
	buffer_store_dword v61, off, s[0:3], s33 offset:68
	buffer_store_dword v60, off, s[0:3], s33 offset:64
	;; [unrolled: 1-line block ×3, first 2 shown]
	v_mov_b32_e32 v0, 0
	s_mov_b64 s[4:5], -1
	v_mov_b32_e32 v1, 0
	s_mov_b64 s[96:97], s[84:85]
	buffer_store_dword v0, off, s[0:3], s33 offset:168 ; 4-byte Folded Spill
	s_nop 0
	buffer_store_dword v1, off, s[0:3], s33 offset:172 ; 4-byte Folded Spill
	s_and_saveexec_b64 s[28:29], s[26:27]
	s_cbranch_execz .LBB6_1116
; %bb.965:
	flat_load_dword v0, v[44:45]
	s_movk_i32 s4, 0x2001
	v_mov_b32_e32 v1, 0
	v_mov_b32_e32 v2, 0
	s_mov_b64 s[26:27], 0
	buffer_store_dword v1, off, s[0:3], s33 offset:168 ; 4-byte Folded Spill
	s_nop 0
	buffer_store_dword v2, off, s[0:3], s33 offset:172 ; 4-byte Folded Spill
	s_waitcnt vmcnt(0) lgkmcnt(0)
	v_add_u32_e32 v0, v0, v46
	v_cmp_gt_i32_e32 vcc, s4, v0
	s_and_saveexec_b64 s[4:5], vcc
	s_xor_b64 s[4:5], exec, s[4:5]
	s_cbranch_execz .LBB6_967
; %bb.966:
	v_ashrrev_i32_e32 v1, 31, v0
	flat_store_dword v[44:45], v0
	v_lshlrev_b64 v[0:1], 2, v[0:1]
	s_mov_b64 s[26:27], exec
	v_add_co_u32_e32 v2, vcc, v44, v0
	v_addc_co_u32_e32 v3, vcc, v45, v1, vcc
	v_mov_b32_e32 v0, v46
	v_mov_b32_e32 v1, 0
	v_lshlrev_b64 v[0:1], 2, v[0:1]
	v_sub_co_u32_e32 v0, vcc, v2, v0
	v_subb_co_u32_e32 v1, vcc, v3, v1, vcc
	v_add_co_u32_e32 v0, vcc, 4, v0
	v_addc_co_u32_e32 v1, vcc, 0, v1, vcc
	buffer_store_dword v0, off, s[0:3], s33 offset:168 ; 4-byte Folded Spill
	s_nop 0
	buffer_store_dword v1, off, s[0:3], s33 offset:172 ; 4-byte Folded Spill
.LBB6_967:
	s_or_saveexec_b64 s[40:41], s[4:5]
	s_mov_b64 s[4:5], s[84:85]
	s_xor_b64 exec, exec, s[40:41]
	s_cbranch_execz .LBB6_1115
; %bb.968:
	s_load_dwordx2 s[6:7], s[64:65], 0x50
	v_mbcnt_lo_u32_b32 v0, -1, 0
	v_mbcnt_hi_u32_b32 v30, -1, v0
	v_readfirstlane_b32 s4, v30
	v_mov_b32_e32 v5, 0
	v_mov_b32_e32 v6, 0
	v_cmp_eq_u32_e64 s[4:5], s4, v30
	s_and_saveexec_b64 s[8:9], s[4:5]
	s_cbranch_execz .LBB6_974
; %bb.969:
	v_mov_b32_e32 v0, 0
	s_waitcnt lgkmcnt(0)
	global_load_dwordx2 v[3:4], v0, s[6:7] offset:24 glc
	s_waitcnt vmcnt(0)
	buffer_wbinvl1_vol
	global_load_dwordx2 v[1:2], v0, s[6:7] offset:40
	global_load_dwordx2 v[5:6], v0, s[6:7]
	s_waitcnt vmcnt(1)
	v_and_b32_e32 v1, v1, v3
	v_and_b32_e32 v2, v2, v4
	v_mul_lo_u32 v2, v2, 24
	v_mul_hi_u32 v7, v1, 24
	v_mul_lo_u32 v1, v1, 24
	v_add_u32_e32 v2, v7, v2
	s_waitcnt vmcnt(0)
	v_add_co_u32_e32 v1, vcc, v5, v1
	v_addc_co_u32_e32 v2, vcc, v6, v2, vcc
	global_load_dwordx2 v[1:2], v[1:2], off glc
	s_waitcnt vmcnt(0)
	global_atomic_cmpswap_x2 v[5:6], v0, v[1:4], s[6:7] offset:24 glc
	s_waitcnt vmcnt(0)
	buffer_wbinvl1_vol
	v_cmp_ne_u64_e32 vcc, v[5:6], v[3:4]
	s_and_saveexec_b64 s[10:11], vcc
	s_cbranch_execz .LBB6_973
; %bb.970:
	s_mov_b64 s[12:13], 0
.LBB6_971:                              ; =>This Inner Loop Header: Depth=1
	s_sleep 1
	global_load_dwordx2 v[1:2], v0, s[6:7] offset:40
	global_load_dwordx2 v[7:8], v0, s[6:7]
	v_mov_b32_e32 v3, v5
	v_mov_b32_e32 v4, v6
	s_waitcnt vmcnt(1)
	v_and_b32_e32 v1, v1, v3
	s_waitcnt vmcnt(0)
	v_mad_u64_u32 v[5:6], s[14:15], v1, 24, v[7:8]
	v_and_b32_e32 v2, v2, v4
	v_mov_b32_e32 v1, v6
	v_mad_u64_u32 v[1:2], s[14:15], v2, 24, v[1:2]
	v_mov_b32_e32 v6, v1
	global_load_dwordx2 v[1:2], v[5:6], off glc
	s_waitcnt vmcnt(0)
	global_atomic_cmpswap_x2 v[5:6], v0, v[1:4], s[6:7] offset:24 glc
	s_waitcnt vmcnt(0)
	buffer_wbinvl1_vol
	v_cmp_eq_u64_e32 vcc, v[5:6], v[3:4]
	s_or_b64 s[12:13], vcc, s[12:13]
	s_andn2_b64 exec, exec, s[12:13]
	s_cbranch_execnz .LBB6_971
; %bb.972:
	s_or_b64 exec, exec, s[12:13]
.LBB6_973:
	s_or_b64 exec, exec, s[10:11]
.LBB6_974:
	s_or_b64 exec, exec, s[8:9]
	v_mov_b32_e32 v4, 0
	s_waitcnt lgkmcnt(0)
	global_load_dwordx2 v[7:8], v4, s[6:7] offset:40
	global_load_dwordx4 v[0:3], v4, s[6:7]
	v_readfirstlane_b32 s9, v6
	v_readfirstlane_b32 s8, v5
	s_mov_b64 s[10:11], exec
	s_waitcnt vmcnt(0)
	v_readfirstlane_b32 s12, v7
	v_readfirstlane_b32 s13, v8
	s_and_b64 s[12:13], s[12:13], s[8:9]
	s_mul_i32 s14, s13, 24
	s_mul_hi_u32 s15, s12, 24
	s_mul_i32 s16, s12, 24
	s_add_i32 s14, s15, s14
	v_mov_b32_e32 v5, s14
	v_add_co_u32_e32 v7, vcc, s16, v0
	v_addc_co_u32_e32 v8, vcc, v1, v5, vcc
	s_and_saveexec_b64 s[14:15], s[4:5]
	s_cbranch_execz .LBB6_976
; %bb.975:
	v_mov_b32_e32 v9, s10
	v_mov_b32_e32 v10, s11
	;; [unrolled: 1-line block ×4, first 2 shown]
	global_store_dwordx4 v[7:8], v[9:12], off offset:8
.LBB6_976:
	s_or_b64 exec, exec, s[14:15]
	s_lshl_b64 s[10:11], s[12:13], 12
	v_mov_b32_e32 v5, s11
	v_add_co_u32_e32 v2, vcc, s10, v2
	v_addc_co_u32_e32 v11, vcc, v3, v5, vcc
	v_lshlrev_b32_e32 v29, 6, v30
	s_mov_b32 s12, 0
	v_mov_b32_e32 v3, 33
	v_mov_b32_e32 v5, v4
	;; [unrolled: 1-line block ×3, first 2 shown]
	v_readfirstlane_b32 s10, v2
	v_readfirstlane_b32 s11, v11
	v_add_co_u32_e32 v9, vcc, v2, v29
	s_mov_b32 s13, s12
	s_mov_b32 s14, s12
	;; [unrolled: 1-line block ×3, first 2 shown]
	s_nop 0
	global_store_dwordx4 v29, v[3:6], s[10:11]
	v_mov_b32_e32 v2, s12
	v_addc_co_u32_e32 v10, vcc, 0, v11, vcc
	v_mov_b32_e32 v3, s13
	v_mov_b32_e32 v4, s14
	v_mov_b32_e32 v5, s15
	global_store_dwordx4 v29, v[2:5], s[10:11] offset:16
	global_store_dwordx4 v29, v[2:5], s[10:11] offset:32
	;; [unrolled: 1-line block ×3, first 2 shown]
	s_and_saveexec_b64 s[10:11], s[4:5]
	s_cbranch_execz .LBB6_984
; %bb.977:
	v_mov_b32_e32 v6, 0
	global_load_dwordx2 v[13:14], v6, s[6:7] offset:32 glc
	global_load_dwordx2 v[2:3], v6, s[6:7] offset:40
	v_mov_b32_e32 v11, s8
	v_mov_b32_e32 v12, s9
	s_waitcnt vmcnt(0)
	v_and_b32_e32 v2, s8, v2
	v_and_b32_e32 v3, s9, v3
	v_mul_lo_u32 v3, v3, 24
	v_mul_hi_u32 v4, v2, 24
	v_mul_lo_u32 v2, v2, 24
	v_add_u32_e32 v3, v4, v3
	v_add_co_u32_e32 v4, vcc, v0, v2
	v_addc_co_u32_e32 v5, vcc, v1, v3, vcc
	global_store_dwordx2 v[4:5], v[13:14], off
	s_waitcnt vmcnt(0)
	global_atomic_cmpswap_x2 v[2:3], v6, v[11:14], s[6:7] offset:32 glc
	s_waitcnt vmcnt(0)
	v_cmp_ne_u64_e32 vcc, v[2:3], v[13:14]
	s_and_saveexec_b64 s[12:13], vcc
	s_cbranch_execz .LBB6_980
; %bb.978:
	s_mov_b64 s[14:15], 0
.LBB6_979:                              ; =>This Inner Loop Header: Depth=1
	s_sleep 1
	global_store_dwordx2 v[4:5], v[2:3], off
	v_mov_b32_e32 v0, s8
	v_mov_b32_e32 v1, s9
	s_waitcnt vmcnt(0)
	global_atomic_cmpswap_x2 v[0:1], v6, v[0:3], s[6:7] offset:32 glc
	s_waitcnt vmcnt(0)
	v_cmp_eq_u64_e32 vcc, v[0:1], v[2:3]
	v_mov_b32_e32 v3, v1
	s_or_b64 s[14:15], vcc, s[14:15]
	v_mov_b32_e32 v2, v0
	s_andn2_b64 exec, exec, s[14:15]
	s_cbranch_execnz .LBB6_979
.LBB6_980:
	s_or_b64 exec, exec, s[12:13]
	v_mov_b32_e32 v3, 0
	global_load_dwordx2 v[0:1], v3, s[6:7] offset:16
	s_mov_b64 s[12:13], exec
	v_mbcnt_lo_u32_b32 v2, s12, 0
	v_mbcnt_hi_u32_b32 v2, s13, v2
	v_cmp_eq_u32_e32 vcc, 0, v2
	s_and_saveexec_b64 s[14:15], vcc
	s_cbranch_execz .LBB6_982
; %bb.981:
	s_bcnt1_i32_b64 s12, s[12:13]
	v_mov_b32_e32 v2, s12
	s_waitcnt vmcnt(0)
	global_atomic_add_x2 v[0:1], v[2:3], off offset:8
.LBB6_982:
	s_or_b64 exec, exec, s[14:15]
	s_waitcnt vmcnt(0)
	global_load_dwordx2 v[2:3], v[0:1], off offset:16
	s_waitcnt vmcnt(0)
	v_cmp_eq_u64_e32 vcc, 0, v[2:3]
	s_cbranch_vccnz .LBB6_984
; %bb.983:
	global_load_dword v0, v[0:1], off offset:24
	v_mov_b32_e32 v1, 0
	s_waitcnt vmcnt(0)
	v_readfirstlane_b32 s12, v0
	s_and_b32 m0, s12, 0xffffff
	global_store_dwordx2 v[2:3], v[0:1], off
	s_sendmsg sendmsg(MSG_INTERRUPT)
.LBB6_984:
	s_or_b64 exec, exec, s[10:11]
	s_branch .LBB6_988
.LBB6_985:                              ;   in Loop: Header=BB6_988 Depth=1
	s_or_b64 exec, exec, s[10:11]
	v_readfirstlane_b32 s10, v0
	s_cmp_eq_u32 s10, 0
	s_cbranch_scc1 .LBB6_987
; %bb.986:                              ;   in Loop: Header=BB6_988 Depth=1
	s_sleep 1
	s_cbranch_execnz .LBB6_988
	s_branch .LBB6_990
.LBB6_987:
	s_branch .LBB6_990
.LBB6_988:                              ; =>This Inner Loop Header: Depth=1
	v_mov_b32_e32 v0, 1
	s_and_saveexec_b64 s[10:11], s[4:5]
	s_cbranch_execz .LBB6_985
; %bb.989:                              ;   in Loop: Header=BB6_988 Depth=1
	global_load_dword v0, v[7:8], off offset:20 glc
	s_waitcnt vmcnt(0)
	buffer_wbinvl1_vol
	v_and_b32_e32 v0, 1, v0
	s_branch .LBB6_985
.LBB6_990:
	global_load_dwordx2 v[0:1], v[9:10], off
	s_and_saveexec_b64 s[10:11], s[4:5]
	s_cbranch_execz .LBB6_993
; %bb.991:
	v_mov_b32_e32 v8, 0
	global_load_dwordx2 v[2:3], v8, s[6:7] offset:40
	global_load_dwordx2 v[11:12], v8, s[6:7] offset:24 glc
	global_load_dwordx2 v[4:5], v8, s[6:7]
	s_waitcnt vmcnt(2)
	v_readfirstlane_b32 s12, v2
	v_readfirstlane_b32 s13, v3
	s_add_u32 s14, s12, 1
	s_addc_u32 s15, s13, 0
	s_add_u32 s4, s14, s8
	s_addc_u32 s5, s15, s9
	s_cmp_eq_u64 s[4:5], 0
	s_cselect_b32 s5, s15, s5
	s_cselect_b32 s4, s14, s4
	s_and_b64 s[8:9], s[4:5], s[12:13]
	s_mul_i32 s9, s9, 24
	s_mul_hi_u32 s12, s8, 24
	s_mul_i32 s8, s8, 24
	s_add_i32 s9, s12, s9
	v_mov_b32_e32 v2, s9
	s_waitcnt vmcnt(0)
	v_add_co_u32_e32 v6, vcc, s8, v4
	v_addc_co_u32_e32 v7, vcc, v5, v2, vcc
	v_mov_b32_e32 v9, s4
	global_store_dwordx2 v[6:7], v[11:12], off
	v_mov_b32_e32 v10, s5
	s_waitcnt vmcnt(0)
	global_atomic_cmpswap_x2 v[4:5], v8, v[9:12], s[6:7] offset:24 glc
	s_mov_b64 s[8:9], 0
	s_waitcnt vmcnt(0)
	v_cmp_ne_u64_e32 vcc, v[4:5], v[11:12]
	s_and_b64 exec, exec, vcc
	s_cbranch_execz .LBB6_993
.LBB6_992:                              ; =>This Inner Loop Header: Depth=1
	s_sleep 1
	global_store_dwordx2 v[6:7], v[4:5], off
	v_mov_b32_e32 v2, s4
	v_mov_b32_e32 v3, s5
	s_waitcnt vmcnt(0)
	global_atomic_cmpswap_x2 v[2:3], v8, v[2:5], s[6:7] offset:24 glc
	s_waitcnt vmcnt(0)
	v_cmp_eq_u64_e32 vcc, v[2:3], v[4:5]
	v_mov_b32_e32 v5, v3
	s_or_b64 s[8:9], vcc, s[8:9]
	v_mov_b32_e32 v4, v2
	s_andn2_b64 exec, exec, s[8:9]
	s_cbranch_execnz .LBB6_992
.LBB6_993:
	s_or_b64 exec, exec, s[10:11]
	s_getpc_b64 s[8:9]
	s_add_u32 s8, s8, .str.28@rel32@lo+4
	s_addc_u32 s9, s9, .str.28@rel32@hi+12
	s_cmp_lg_u64 s[8:9], 0
	s_cbranch_scc0 .LBB6_1086
; %bb.994:
	s_waitcnt vmcnt(0)
	v_and_b32_e32 v6, -3, v0
	v_mov_b32_e32 v7, v1
	s_mov_b64 s[10:11], 35
	v_mov_b32_e32 v26, 0
	v_mov_b32_e32 v4, 2
	;; [unrolled: 1-line block ×3, first 2 shown]
	s_branch .LBB6_996
.LBB6_995:                              ;   in Loop: Header=BB6_996 Depth=1
	s_or_b64 exec, exec, s[16:17]
	s_sub_u32 s10, s10, s12
	s_subb_u32 s11, s11, s13
	s_add_u32 s8, s8, s12
	s_addc_u32 s9, s9, s13
	s_cmp_lg_u64 s[10:11], 0
	s_cbranch_scc0 .LBB6_1085
.LBB6_996:                              ; =>This Loop Header: Depth=1
                                        ;     Child Loop BB6_999 Depth 2
                                        ;     Child Loop BB6_1008 Depth 2
	;; [unrolled: 1-line block ×11, first 2 shown]
	v_cmp_lt_u64_e64 s[4:5], s[10:11], 56
	v_cmp_gt_u64_e64 s[14:15], s[10:11], 7
	s_and_b64 s[4:5], s[4:5], exec
	s_cselect_b32 s13, s11, 0
	s_cselect_b32 s12, s10, 56
	s_add_u32 s4, s8, 8
	s_addc_u32 s5, s9, 0
	s_and_b64 vcc, exec, s[14:15]
	s_cbranch_vccnz .LBB6_1000
; %bb.997:                              ;   in Loop: Header=BB6_996 Depth=1
	s_cmp_eq_u64 s[10:11], 0
	s_cbranch_scc1 .LBB6_1001
; %bb.998:                              ;   in Loop: Header=BB6_996 Depth=1
	s_waitcnt vmcnt(0)
	v_mov_b32_e32 v8, 0
	s_lshl_b64 s[4:5], s[12:13], 3
	s_mov_b64 s[14:15], 0
	v_mov_b32_e32 v9, 0
	s_mov_b64 s[16:17], s[8:9]
.LBB6_999:                              ;   Parent Loop BB6_996 Depth=1
                                        ; =>  This Inner Loop Header: Depth=2
	global_load_ubyte v2, v26, s[16:17]
	s_waitcnt vmcnt(0)
	v_and_b32_e32 v25, 0xffff, v2
	v_lshlrev_b64 v[2:3], s14, v[25:26]
	s_add_u32 s14, s14, 8
	s_addc_u32 s15, s15, 0
	s_add_u32 s16, s16, 1
	s_addc_u32 s17, s17, 0
	v_or_b32_e32 v8, v2, v8
	s_cmp_lg_u32 s4, s14
	v_or_b32_e32 v9, v3, v9
	s_cbranch_scc1 .LBB6_999
	s_branch .LBB6_1002
.LBB6_1000:                             ;   in Loop: Header=BB6_996 Depth=1
	s_mov_b64 s[14:15], -1
	s_branch .LBB6_1003
.LBB6_1001:                             ;   in Loop: Header=BB6_996 Depth=1
	s_waitcnt vmcnt(0)
	v_mov_b32_e32 v8, 0
	v_mov_b32_e32 v9, 0
.LBB6_1002:                             ;   in Loop: Header=BB6_996 Depth=1
	s_mov_b64 s[14:15], 0
	s_mov_b64 s[4:5], s[8:9]
.LBB6_1003:                             ;   in Loop: Header=BB6_996 Depth=1
	s_andn2_b64 vcc, exec, s[14:15]
	s_mov_b32 s18, 0
	s_cbranch_vccnz .LBB6_1005
; %bb.1004:                             ;   in Loop: Header=BB6_996 Depth=1
	global_load_dwordx2 v[8:9], v26, s[8:9]
	s_add_i32 s18, s12, -8
.LBB6_1005:                             ;   in Loop: Header=BB6_996 Depth=1
	s_add_u32 s14, s4, 8
	s_addc_u32 s15, s5, 0
	s_cmp_gt_u32 s18, 7
	s_cbranch_scc1 .LBB6_1009
; %bb.1006:                             ;   in Loop: Header=BB6_996 Depth=1
	s_cmp_eq_u32 s18, 0
	s_cbranch_scc1 .LBB6_1010
; %bb.1007:                             ;   in Loop: Header=BB6_996 Depth=1
	v_mov_b32_e32 v10, 0
	s_mov_b64 s[14:15], 0
	v_mov_b32_e32 v11, 0
	s_mov_b64 s[16:17], 0
.LBB6_1008:                             ;   Parent Loop BB6_996 Depth=1
                                        ; =>  This Inner Loop Header: Depth=2
	s_add_u32 s20, s4, s16
	s_addc_u32 s21, s5, s17
	global_load_ubyte v2, v26, s[20:21]
	s_add_u32 s16, s16, 1
	s_addc_u32 s17, s17, 0
	s_waitcnt vmcnt(0)
	v_and_b32_e32 v25, 0xffff, v2
	v_lshlrev_b64 v[2:3], s14, v[25:26]
	s_add_u32 s14, s14, 8
	s_addc_u32 s15, s15, 0
	v_or_b32_e32 v10, v2, v10
	s_cmp_lg_u32 s18, s16
	v_or_b32_e32 v11, v3, v11
	s_cbranch_scc1 .LBB6_1008
	s_branch .LBB6_1011
.LBB6_1009:                             ;   in Loop: Header=BB6_996 Depth=1
	s_mov_b64 s[16:17], -1
                                        ; implicit-def: $vgpr10_vgpr11
	s_branch .LBB6_1012
.LBB6_1010:                             ;   in Loop: Header=BB6_996 Depth=1
	v_mov_b32_e32 v10, 0
	v_mov_b32_e32 v11, 0
.LBB6_1011:                             ;   in Loop: Header=BB6_996 Depth=1
	s_mov_b64 s[16:17], 0
	s_mov_b64 s[14:15], s[4:5]
.LBB6_1012:                             ;   in Loop: Header=BB6_996 Depth=1
	s_andn2_b64 vcc, exec, s[16:17]
	s_mov_b32 s19, 0
	s_cbranch_vccnz .LBB6_1014
; %bb.1013:                             ;   in Loop: Header=BB6_996 Depth=1
	global_load_dwordx2 v[10:11], v26, s[4:5]
	s_add_i32 s19, s18, -8
.LBB6_1014:                             ;   in Loop: Header=BB6_996 Depth=1
	s_add_u32 s4, s14, 8
	s_addc_u32 s5, s15, 0
	s_cmp_gt_u32 s19, 7
	s_cbranch_scc1 .LBB6_1018
; %bb.1015:                             ;   in Loop: Header=BB6_996 Depth=1
	s_cmp_eq_u32 s19, 0
	s_cbranch_scc1 .LBB6_1019
; %bb.1016:                             ;   in Loop: Header=BB6_996 Depth=1
	v_mov_b32_e32 v12, 0
	s_mov_b64 s[4:5], 0
	v_mov_b32_e32 v13, 0
	s_mov_b64 s[16:17], 0
.LBB6_1017:                             ;   Parent Loop BB6_996 Depth=1
                                        ; =>  This Inner Loop Header: Depth=2
	s_add_u32 s20, s14, s16
	s_addc_u32 s21, s15, s17
	global_load_ubyte v2, v26, s[20:21]
	s_add_u32 s16, s16, 1
	s_addc_u32 s17, s17, 0
	s_waitcnt vmcnt(0)
	v_and_b32_e32 v25, 0xffff, v2
	v_lshlrev_b64 v[2:3], s4, v[25:26]
	s_add_u32 s4, s4, 8
	s_addc_u32 s5, s5, 0
	v_or_b32_e32 v12, v2, v12
	s_cmp_lg_u32 s19, s16
	v_or_b32_e32 v13, v3, v13
	s_cbranch_scc1 .LBB6_1017
	s_branch .LBB6_1020
.LBB6_1018:                             ;   in Loop: Header=BB6_996 Depth=1
	s_mov_b64 s[16:17], -1
	s_branch .LBB6_1021
.LBB6_1019:                             ;   in Loop: Header=BB6_996 Depth=1
	v_mov_b32_e32 v12, 0
	v_mov_b32_e32 v13, 0
.LBB6_1020:                             ;   in Loop: Header=BB6_996 Depth=1
	s_mov_b64 s[16:17], 0
	s_mov_b64 s[4:5], s[14:15]
.LBB6_1021:                             ;   in Loop: Header=BB6_996 Depth=1
	s_andn2_b64 vcc, exec, s[16:17]
	s_mov_b32 s18, 0
	s_cbranch_vccnz .LBB6_1023
; %bb.1022:                             ;   in Loop: Header=BB6_996 Depth=1
	global_load_dwordx2 v[12:13], v26, s[14:15]
	s_add_i32 s18, s19, -8
.LBB6_1023:                             ;   in Loop: Header=BB6_996 Depth=1
	s_add_u32 s14, s4, 8
	s_addc_u32 s15, s5, 0
	s_cmp_gt_u32 s18, 7
	s_cbranch_scc1 .LBB6_1027
; %bb.1024:                             ;   in Loop: Header=BB6_996 Depth=1
	s_cmp_eq_u32 s18, 0
	s_cbranch_scc1 .LBB6_1028
; %bb.1025:                             ;   in Loop: Header=BB6_996 Depth=1
	v_mov_b32_e32 v14, 0
	s_mov_b64 s[14:15], 0
	v_mov_b32_e32 v15, 0
	s_mov_b64 s[16:17], 0
.LBB6_1026:                             ;   Parent Loop BB6_996 Depth=1
                                        ; =>  This Inner Loop Header: Depth=2
	s_add_u32 s20, s4, s16
	s_addc_u32 s21, s5, s17
	global_load_ubyte v2, v26, s[20:21]
	s_add_u32 s16, s16, 1
	s_addc_u32 s17, s17, 0
	s_waitcnt vmcnt(0)
	v_and_b32_e32 v25, 0xffff, v2
	v_lshlrev_b64 v[2:3], s14, v[25:26]
	s_add_u32 s14, s14, 8
	s_addc_u32 s15, s15, 0
	v_or_b32_e32 v14, v2, v14
	s_cmp_lg_u32 s18, s16
	v_or_b32_e32 v15, v3, v15
	s_cbranch_scc1 .LBB6_1026
	s_branch .LBB6_1029
.LBB6_1027:                             ;   in Loop: Header=BB6_996 Depth=1
	s_mov_b64 s[16:17], -1
                                        ; implicit-def: $vgpr14_vgpr15
	s_branch .LBB6_1030
.LBB6_1028:                             ;   in Loop: Header=BB6_996 Depth=1
	v_mov_b32_e32 v14, 0
	v_mov_b32_e32 v15, 0
.LBB6_1029:                             ;   in Loop: Header=BB6_996 Depth=1
	s_mov_b64 s[16:17], 0
	s_mov_b64 s[14:15], s[4:5]
.LBB6_1030:                             ;   in Loop: Header=BB6_996 Depth=1
	s_andn2_b64 vcc, exec, s[16:17]
	s_mov_b32 s19, 0
	s_cbranch_vccnz .LBB6_1032
; %bb.1031:                             ;   in Loop: Header=BB6_996 Depth=1
	global_load_dwordx2 v[14:15], v26, s[4:5]
	s_add_i32 s19, s18, -8
.LBB6_1032:                             ;   in Loop: Header=BB6_996 Depth=1
	s_add_u32 s4, s14, 8
	s_addc_u32 s5, s15, 0
	s_cmp_gt_u32 s19, 7
	s_cbranch_scc1 .LBB6_1036
; %bb.1033:                             ;   in Loop: Header=BB6_996 Depth=1
	s_cmp_eq_u32 s19, 0
	s_cbranch_scc1 .LBB6_1037
; %bb.1034:                             ;   in Loop: Header=BB6_996 Depth=1
	v_mov_b32_e32 v16, 0
	s_mov_b64 s[4:5], 0
	v_mov_b32_e32 v17, 0
	s_mov_b64 s[16:17], 0
.LBB6_1035:                             ;   Parent Loop BB6_996 Depth=1
                                        ; =>  This Inner Loop Header: Depth=2
	s_add_u32 s20, s14, s16
	s_addc_u32 s21, s15, s17
	global_load_ubyte v2, v26, s[20:21]
	s_add_u32 s16, s16, 1
	s_addc_u32 s17, s17, 0
	s_waitcnt vmcnt(0)
	v_and_b32_e32 v25, 0xffff, v2
	v_lshlrev_b64 v[2:3], s4, v[25:26]
	s_add_u32 s4, s4, 8
	s_addc_u32 s5, s5, 0
	v_or_b32_e32 v16, v2, v16
	s_cmp_lg_u32 s19, s16
	v_or_b32_e32 v17, v3, v17
	s_cbranch_scc1 .LBB6_1035
	s_branch .LBB6_1038
.LBB6_1036:                             ;   in Loop: Header=BB6_996 Depth=1
	s_mov_b64 s[16:17], -1
	s_branch .LBB6_1039
.LBB6_1037:                             ;   in Loop: Header=BB6_996 Depth=1
	v_mov_b32_e32 v16, 0
	v_mov_b32_e32 v17, 0
.LBB6_1038:                             ;   in Loop: Header=BB6_996 Depth=1
	s_mov_b64 s[16:17], 0
	s_mov_b64 s[4:5], s[14:15]
.LBB6_1039:                             ;   in Loop: Header=BB6_996 Depth=1
	s_andn2_b64 vcc, exec, s[16:17]
	s_mov_b32 s18, 0
	s_cbranch_vccnz .LBB6_1041
; %bb.1040:                             ;   in Loop: Header=BB6_996 Depth=1
	global_load_dwordx2 v[16:17], v26, s[14:15]
	s_add_i32 s18, s19, -8
.LBB6_1041:                             ;   in Loop: Header=BB6_996 Depth=1
	s_add_u32 s14, s4, 8
	s_addc_u32 s15, s5, 0
	s_cmp_gt_u32 s18, 7
	s_cbranch_scc1 .LBB6_1045
; %bb.1042:                             ;   in Loop: Header=BB6_996 Depth=1
	s_cmp_eq_u32 s18, 0
	s_cbranch_scc1 .LBB6_1046
; %bb.1043:                             ;   in Loop: Header=BB6_996 Depth=1
	v_mov_b32_e32 v18, 0
	s_mov_b64 s[14:15], 0
	v_mov_b32_e32 v19, 0
	s_mov_b64 s[16:17], 0
.LBB6_1044:                             ;   Parent Loop BB6_996 Depth=1
                                        ; =>  This Inner Loop Header: Depth=2
	s_add_u32 s20, s4, s16
	s_addc_u32 s21, s5, s17
	global_load_ubyte v2, v26, s[20:21]
	s_add_u32 s16, s16, 1
	s_addc_u32 s17, s17, 0
	s_waitcnt vmcnt(0)
	v_and_b32_e32 v25, 0xffff, v2
	v_lshlrev_b64 v[2:3], s14, v[25:26]
	s_add_u32 s14, s14, 8
	s_addc_u32 s15, s15, 0
	v_or_b32_e32 v18, v2, v18
	s_cmp_lg_u32 s18, s16
	v_or_b32_e32 v19, v3, v19
	s_cbranch_scc1 .LBB6_1044
	s_branch .LBB6_1047
.LBB6_1045:                             ;   in Loop: Header=BB6_996 Depth=1
	s_mov_b64 s[16:17], -1
                                        ; implicit-def: $vgpr18_vgpr19
	s_branch .LBB6_1048
.LBB6_1046:                             ;   in Loop: Header=BB6_996 Depth=1
	v_mov_b32_e32 v18, 0
	v_mov_b32_e32 v19, 0
.LBB6_1047:                             ;   in Loop: Header=BB6_996 Depth=1
	s_mov_b64 s[16:17], 0
	s_mov_b64 s[14:15], s[4:5]
.LBB6_1048:                             ;   in Loop: Header=BB6_996 Depth=1
	s_andn2_b64 vcc, exec, s[16:17]
	s_mov_b32 s19, 0
	s_cbranch_vccnz .LBB6_1050
; %bb.1049:                             ;   in Loop: Header=BB6_996 Depth=1
	global_load_dwordx2 v[18:19], v26, s[4:5]
	s_add_i32 s19, s18, -8
.LBB6_1050:                             ;   in Loop: Header=BB6_996 Depth=1
	s_cmp_gt_u32 s19, 7
	s_cbranch_scc1 .LBB6_1054
; %bb.1051:                             ;   in Loop: Header=BB6_996 Depth=1
	s_cmp_eq_u32 s19, 0
	s_cbranch_scc1 .LBB6_1055
; %bb.1052:                             ;   in Loop: Header=BB6_996 Depth=1
	v_mov_b32_e32 v20, 0
	s_mov_b64 s[4:5], 0
	v_mov_b32_e32 v21, 0
	s_mov_b64 s[16:17], s[14:15]
.LBB6_1053:                             ;   Parent Loop BB6_996 Depth=1
                                        ; =>  This Inner Loop Header: Depth=2
	global_load_ubyte v2, v26, s[16:17]
	s_add_i32 s19, s19, -1
	s_waitcnt vmcnt(0)
	v_and_b32_e32 v25, 0xffff, v2
	v_lshlrev_b64 v[2:3], s4, v[25:26]
	s_add_u32 s4, s4, 8
	s_addc_u32 s5, s5, 0
	s_add_u32 s16, s16, 1
	s_addc_u32 s17, s17, 0
	v_or_b32_e32 v20, v2, v20
	s_cmp_lg_u32 s19, 0
	v_or_b32_e32 v21, v3, v21
	s_cbranch_scc1 .LBB6_1053
	s_branch .LBB6_1056
.LBB6_1054:                             ;   in Loop: Header=BB6_996 Depth=1
	s_mov_b64 s[4:5], -1
	s_branch .LBB6_1057
.LBB6_1055:                             ;   in Loop: Header=BB6_996 Depth=1
	v_mov_b32_e32 v20, 0
	v_mov_b32_e32 v21, 0
.LBB6_1056:                             ;   in Loop: Header=BB6_996 Depth=1
	s_mov_b64 s[4:5], 0
.LBB6_1057:                             ;   in Loop: Header=BB6_996 Depth=1
	s_andn2_b64 vcc, exec, s[4:5]
	s_cbranch_vccnz .LBB6_1059
; %bb.1058:                             ;   in Loop: Header=BB6_996 Depth=1
	global_load_dwordx2 v[20:21], v26, s[14:15]
.LBB6_1059:                             ;   in Loop: Header=BB6_996 Depth=1
	v_readfirstlane_b32 s4, v30
	v_mov_b32_e32 v2, 0
	v_mov_b32_e32 v3, 0
	v_cmp_eq_u32_e64 s[4:5], s4, v30
	s_and_saveexec_b64 s[14:15], s[4:5]
	s_cbranch_execz .LBB6_1065
; %bb.1060:                             ;   in Loop: Header=BB6_996 Depth=1
	global_load_dwordx2 v[24:25], v26, s[6:7] offset:24 glc
	s_waitcnt vmcnt(0)
	buffer_wbinvl1_vol
	global_load_dwordx2 v[2:3], v26, s[6:7] offset:40
	global_load_dwordx2 v[22:23], v26, s[6:7]
	s_waitcnt vmcnt(1)
	v_and_b32_e32 v2, v2, v24
	v_and_b32_e32 v3, v3, v25
	v_mul_lo_u32 v3, v3, 24
	v_mul_hi_u32 v27, v2, 24
	v_mul_lo_u32 v2, v2, 24
	v_add_u32_e32 v3, v27, v3
	s_waitcnt vmcnt(0)
	v_add_co_u32_e32 v2, vcc, v22, v2
	v_addc_co_u32_e32 v3, vcc, v23, v3, vcc
	global_load_dwordx2 v[22:23], v[2:3], off glc
	s_waitcnt vmcnt(0)
	global_atomic_cmpswap_x2 v[2:3], v26, v[22:25], s[6:7] offset:24 glc
	s_waitcnt vmcnt(0)
	buffer_wbinvl1_vol
	v_cmp_ne_u64_e32 vcc, v[2:3], v[24:25]
	s_and_saveexec_b64 s[16:17], vcc
	s_cbranch_execz .LBB6_1064
; %bb.1061:                             ;   in Loop: Header=BB6_996 Depth=1
	s_mov_b64 s[18:19], 0
.LBB6_1062:                             ;   Parent Loop BB6_996 Depth=1
                                        ; =>  This Inner Loop Header: Depth=2
	s_sleep 1
	global_load_dwordx2 v[22:23], v26, s[6:7] offset:40
	global_load_dwordx2 v[27:28], v26, s[6:7]
	v_mov_b32_e32 v25, v3
	v_mov_b32_e32 v24, v2
	s_waitcnt vmcnt(1)
	v_and_b32_e32 v2, v22, v24
	s_waitcnt vmcnt(0)
	v_mad_u64_u32 v[2:3], s[20:21], v2, 24, v[27:28]
	v_and_b32_e32 v22, v23, v25
	v_mad_u64_u32 v[22:23], s[20:21], v22, 24, v[3:4]
	v_mov_b32_e32 v3, v22
	global_load_dwordx2 v[22:23], v[2:3], off glc
	s_waitcnt vmcnt(0)
	global_atomic_cmpswap_x2 v[2:3], v26, v[22:25], s[6:7] offset:24 glc
	s_waitcnt vmcnt(0)
	buffer_wbinvl1_vol
	v_cmp_eq_u64_e32 vcc, v[2:3], v[24:25]
	s_or_b64 s[18:19], vcc, s[18:19]
	s_andn2_b64 exec, exec, s[18:19]
	s_cbranch_execnz .LBB6_1062
; %bb.1063:                             ;   in Loop: Header=BB6_996 Depth=1
	s_or_b64 exec, exec, s[18:19]
.LBB6_1064:                             ;   in Loop: Header=BB6_996 Depth=1
	s_or_b64 exec, exec, s[16:17]
.LBB6_1065:                             ;   in Loop: Header=BB6_996 Depth=1
	s_or_b64 exec, exec, s[14:15]
	global_load_dwordx2 v[27:28], v26, s[6:7] offset:40
	global_load_dwordx4 v[22:25], v26, s[6:7]
	v_readfirstlane_b32 s15, v3
	v_readfirstlane_b32 s14, v2
	s_mov_b64 s[16:17], exec
	s_waitcnt vmcnt(1)
	v_readfirstlane_b32 s18, v27
	v_readfirstlane_b32 s19, v28
	s_and_b64 s[18:19], s[18:19], s[14:15]
	s_mul_i32 s20, s19, 24
	s_mul_hi_u32 s21, s18, 24
	s_mul_i32 s22, s18, 24
	s_add_i32 s20, s21, s20
	v_mov_b32_e32 v2, s20
	s_waitcnt vmcnt(0)
	v_add_co_u32_e32 v27, vcc, s22, v22
	v_addc_co_u32_e32 v28, vcc, v23, v2, vcc
	s_and_saveexec_b64 s[20:21], s[4:5]
	s_cbranch_execz .LBB6_1067
; %bb.1066:                             ;   in Loop: Header=BB6_996 Depth=1
	v_mov_b32_e32 v2, s16
	v_mov_b32_e32 v3, s17
	global_store_dwordx4 v[27:28], v[2:5], off offset:8
.LBB6_1067:                             ;   in Loop: Header=BB6_996 Depth=1
	s_or_b64 exec, exec, s[20:21]
	s_lshl_b64 s[16:17], s[18:19], 12
	v_cmp_gt_u64_e64 s[18:19], s[10:11], 56
	v_mov_b32_e32 v2, s17
	v_add_co_u32_e32 v24, vcc, s16, v24
	s_and_b64 s[16:17], s[18:19], exec
	s_cselect_b32 s16, 0, 2
	s_lshl_b32 s17, s12, 2
	v_addc_co_u32_e32 v31, vcc, v25, v2, vcc
	s_add_i32 s17, s17, 28
	v_and_b32_e32 v2, 0xffffff1f, v6
	s_and_b32 s17, s17, 0x1e0
	v_or_b32_e32 v2, s16, v2
	v_or_b32_e32 v6, s17, v2
	v_readfirstlane_b32 s16, v24
	v_readfirstlane_b32 s17, v31
	s_nop 4
	global_store_dwordx4 v29, v[6:9], s[16:17]
	global_store_dwordx4 v29, v[10:13], s[16:17] offset:16
	global_store_dwordx4 v29, v[14:17], s[16:17] offset:32
	;; [unrolled: 1-line block ×3, first 2 shown]
	s_and_saveexec_b64 s[16:17], s[4:5]
	s_cbranch_execz .LBB6_1075
; %bb.1068:                             ;   in Loop: Header=BB6_996 Depth=1
	global_load_dwordx2 v[10:11], v26, s[6:7] offset:32 glc
	global_load_dwordx2 v[2:3], v26, s[6:7] offset:40
	v_mov_b32_e32 v8, s14
	v_mov_b32_e32 v9, s15
	s_waitcnt vmcnt(0)
	v_readfirstlane_b32 s18, v2
	v_readfirstlane_b32 s19, v3
	s_and_b64 s[18:19], s[18:19], s[14:15]
	s_mul_i32 s19, s19, 24
	s_mul_hi_u32 s20, s18, 24
	s_mul_i32 s18, s18, 24
	s_add_i32 s19, s20, s19
	v_mov_b32_e32 v3, s19
	v_add_co_u32_e32 v2, vcc, s18, v22
	v_addc_co_u32_e32 v3, vcc, v23, v3, vcc
	global_store_dwordx2 v[2:3], v[10:11], off
	s_waitcnt vmcnt(0)
	global_atomic_cmpswap_x2 v[8:9], v26, v[8:11], s[6:7] offset:32 glc
	s_waitcnt vmcnt(0)
	v_cmp_ne_u64_e32 vcc, v[8:9], v[10:11]
	s_and_saveexec_b64 s[18:19], vcc
	s_cbranch_execz .LBB6_1071
; %bb.1069:                             ;   in Loop: Header=BB6_996 Depth=1
	s_mov_b64 s[20:21], 0
.LBB6_1070:                             ;   Parent Loop BB6_996 Depth=1
                                        ; =>  This Inner Loop Header: Depth=2
	s_sleep 1
	global_store_dwordx2 v[2:3], v[8:9], off
	v_mov_b32_e32 v6, s14
	v_mov_b32_e32 v7, s15
	s_waitcnt vmcnt(0)
	global_atomic_cmpswap_x2 v[6:7], v26, v[6:9], s[6:7] offset:32 glc
	s_waitcnt vmcnt(0)
	v_cmp_eq_u64_e32 vcc, v[6:7], v[8:9]
	v_mov_b32_e32 v9, v7
	s_or_b64 s[20:21], vcc, s[20:21]
	v_mov_b32_e32 v8, v6
	s_andn2_b64 exec, exec, s[20:21]
	s_cbranch_execnz .LBB6_1070
.LBB6_1071:                             ;   in Loop: Header=BB6_996 Depth=1
	s_or_b64 exec, exec, s[18:19]
	global_load_dwordx2 v[2:3], v26, s[6:7] offset:16
	s_mov_b64 s[20:21], exec
	v_mbcnt_lo_u32_b32 v6, s20, 0
	v_mbcnt_hi_u32_b32 v6, s21, v6
	v_cmp_eq_u32_e32 vcc, 0, v6
	s_and_saveexec_b64 s[18:19], vcc
	s_cbranch_execz .LBB6_1073
; %bb.1072:                             ;   in Loop: Header=BB6_996 Depth=1
	s_bcnt1_i32_b64 s20, s[20:21]
	v_mov_b32_e32 v25, s20
	s_waitcnt vmcnt(0)
	global_atomic_add_x2 v[2:3], v[25:26], off offset:8
.LBB6_1073:                             ;   in Loop: Header=BB6_996 Depth=1
	s_or_b64 exec, exec, s[18:19]
	s_waitcnt vmcnt(0)
	global_load_dwordx2 v[6:7], v[2:3], off offset:16
	s_waitcnt vmcnt(0)
	v_cmp_eq_u64_e32 vcc, 0, v[6:7]
	s_cbranch_vccnz .LBB6_1075
; %bb.1074:                             ;   in Loop: Header=BB6_996 Depth=1
	global_load_dword v25, v[2:3], off offset:24
	s_waitcnt vmcnt(0)
	v_readfirstlane_b32 s18, v25
	s_and_b32 m0, s18, 0xffffff
	global_store_dwordx2 v[6:7], v[25:26], off
	s_sendmsg sendmsg(MSG_INTERRUPT)
.LBB6_1075:                             ;   in Loop: Header=BB6_996 Depth=1
	s_or_b64 exec, exec, s[16:17]
	v_add_co_u32_e32 v2, vcc, v24, v29
	v_addc_co_u32_e32 v3, vcc, 0, v31, vcc
	s_branch .LBB6_1079
.LBB6_1076:                             ;   in Loop: Header=BB6_1079 Depth=2
	s_or_b64 exec, exec, s[16:17]
	v_readfirstlane_b32 s16, v6
	s_cmp_eq_u32 s16, 0
	s_cbranch_scc1 .LBB6_1078
; %bb.1077:                             ;   in Loop: Header=BB6_1079 Depth=2
	s_sleep 1
	s_cbranch_execnz .LBB6_1079
	s_branch .LBB6_1081
.LBB6_1078:                             ;   in Loop: Header=BB6_996 Depth=1
	s_branch .LBB6_1081
.LBB6_1079:                             ;   Parent Loop BB6_996 Depth=1
                                        ; =>  This Inner Loop Header: Depth=2
	v_mov_b32_e32 v6, 1
	s_and_saveexec_b64 s[16:17], s[4:5]
	s_cbranch_execz .LBB6_1076
; %bb.1080:                             ;   in Loop: Header=BB6_1079 Depth=2
	global_load_dword v6, v[27:28], off offset:20 glc
	s_waitcnt vmcnt(0)
	buffer_wbinvl1_vol
	v_and_b32_e32 v6, 1, v6
	s_branch .LBB6_1076
.LBB6_1081:                             ;   in Loop: Header=BB6_996 Depth=1
	global_load_dwordx4 v[6:9], v[2:3], off
	s_and_saveexec_b64 s[16:17], s[4:5]
	s_cbranch_execz .LBB6_995
; %bb.1082:                             ;   in Loop: Header=BB6_996 Depth=1
	global_load_dwordx2 v[2:3], v26, s[6:7] offset:40
	global_load_dwordx2 v[12:13], v26, s[6:7] offset:24 glc
	global_load_dwordx2 v[8:9], v26, s[6:7]
	s_waitcnt vmcnt(2)
	v_readfirstlane_b32 s18, v2
	v_readfirstlane_b32 s19, v3
	s_add_u32 s20, s18, 1
	s_addc_u32 s21, s19, 0
	s_add_u32 s4, s20, s14
	s_addc_u32 s5, s21, s15
	s_cmp_eq_u64 s[4:5], 0
	s_cselect_b32 s5, s21, s5
	s_cselect_b32 s4, s20, s4
	s_and_b64 s[14:15], s[4:5], s[18:19]
	s_mul_i32 s15, s15, 24
	s_mul_hi_u32 s18, s14, 24
	s_mul_i32 s14, s14, 24
	s_add_i32 s15, s18, s15
	v_mov_b32_e32 v3, s15
	s_waitcnt vmcnt(0)
	v_add_co_u32_e32 v2, vcc, s14, v8
	v_addc_co_u32_e32 v3, vcc, v9, v3, vcc
	v_mov_b32_e32 v10, s4
	global_store_dwordx2 v[2:3], v[12:13], off
	v_mov_b32_e32 v11, s5
	s_waitcnt vmcnt(0)
	global_atomic_cmpswap_x2 v[10:11], v26, v[10:13], s[6:7] offset:24 glc
	s_waitcnt vmcnt(0)
	v_cmp_ne_u64_e32 vcc, v[10:11], v[12:13]
	s_and_b64 exec, exec, vcc
	s_cbranch_execz .LBB6_995
; %bb.1083:                             ;   in Loop: Header=BB6_996 Depth=1
	s_mov_b64 s[14:15], 0
.LBB6_1084:                             ;   Parent Loop BB6_996 Depth=1
                                        ; =>  This Inner Loop Header: Depth=2
	s_sleep 1
	global_store_dwordx2 v[2:3], v[10:11], off
	v_mov_b32_e32 v8, s4
	v_mov_b32_e32 v9, s5
	s_waitcnt vmcnt(0)
	global_atomic_cmpswap_x2 v[8:9], v26, v[8:11], s[6:7] offset:24 glc
	s_waitcnt vmcnt(0)
	v_cmp_eq_u64_e32 vcc, v[8:9], v[10:11]
	v_mov_b32_e32 v11, v9
	s_or_b64 s[14:15], vcc, s[14:15]
	v_mov_b32_e32 v10, v8
	s_andn2_b64 exec, exec, s[14:15]
	s_cbranch_execnz .LBB6_1084
	s_branch .LBB6_995
.LBB6_1085:
	s_mov_b64 s[4:5], 0
	s_branch .LBB6_1087
.LBB6_1086:
	s_mov_b64 s[4:5], -1
.LBB6_1087:
	s_and_b64 vcc, exec, s[4:5]
	s_cbranch_vccz .LBB6_1114
; %bb.1088:
	v_readfirstlane_b32 s4, v30
	s_waitcnt vmcnt(0)
	v_mov_b32_e32 v8, 0
	v_mov_b32_e32 v9, 0
	v_cmp_eq_u32_e64 s[4:5], s4, v30
	s_and_saveexec_b64 s[8:9], s[4:5]
	s_cbranch_execz .LBB6_1094
; %bb.1089:
	v_mov_b32_e32 v2, 0
	global_load_dwordx2 v[5:6], v2, s[6:7] offset:24 glc
	s_waitcnt vmcnt(0)
	buffer_wbinvl1_vol
	global_load_dwordx2 v[3:4], v2, s[6:7] offset:40
	global_load_dwordx2 v[7:8], v2, s[6:7]
	s_waitcnt vmcnt(1)
	v_and_b32_e32 v3, v3, v5
	v_and_b32_e32 v4, v4, v6
	v_mul_lo_u32 v4, v4, 24
	v_mul_hi_u32 v9, v3, 24
	v_mul_lo_u32 v3, v3, 24
	v_add_u32_e32 v4, v9, v4
	s_waitcnt vmcnt(0)
	v_add_co_u32_e32 v3, vcc, v7, v3
	v_addc_co_u32_e32 v4, vcc, v8, v4, vcc
	global_load_dwordx2 v[3:4], v[3:4], off glc
	s_waitcnt vmcnt(0)
	global_atomic_cmpswap_x2 v[8:9], v2, v[3:6], s[6:7] offset:24 glc
	s_waitcnt vmcnt(0)
	buffer_wbinvl1_vol
	v_cmp_ne_u64_e32 vcc, v[8:9], v[5:6]
	s_and_saveexec_b64 s[10:11], vcc
	s_cbranch_execz .LBB6_1093
; %bb.1090:
	s_mov_b64 s[12:13], 0
.LBB6_1091:                             ; =>This Inner Loop Header: Depth=1
	s_sleep 1
	global_load_dwordx2 v[3:4], v2, s[6:7] offset:40
	global_load_dwordx2 v[10:11], v2, s[6:7]
	v_mov_b32_e32 v5, v8
	v_mov_b32_e32 v6, v9
	s_waitcnt vmcnt(1)
	v_and_b32_e32 v3, v3, v5
	s_waitcnt vmcnt(0)
	v_mad_u64_u32 v[7:8], s[14:15], v3, 24, v[10:11]
	v_and_b32_e32 v4, v4, v6
	v_mov_b32_e32 v3, v8
	v_mad_u64_u32 v[3:4], s[14:15], v4, 24, v[3:4]
	v_mov_b32_e32 v8, v3
	global_load_dwordx2 v[3:4], v[7:8], off glc
	s_waitcnt vmcnt(0)
	global_atomic_cmpswap_x2 v[8:9], v2, v[3:6], s[6:7] offset:24 glc
	s_waitcnt vmcnt(0)
	buffer_wbinvl1_vol
	v_cmp_eq_u64_e32 vcc, v[8:9], v[5:6]
	s_or_b64 s[12:13], vcc, s[12:13]
	s_andn2_b64 exec, exec, s[12:13]
	s_cbranch_execnz .LBB6_1091
; %bb.1092:
	s_or_b64 exec, exec, s[12:13]
.LBB6_1093:
	s_or_b64 exec, exec, s[10:11]
.LBB6_1094:
	s_or_b64 exec, exec, s[8:9]
	v_mov_b32_e32 v2, 0
	global_load_dwordx2 v[10:11], v2, s[6:7] offset:40
	global_load_dwordx4 v[4:7], v2, s[6:7]
	v_readfirstlane_b32 s9, v9
	v_readfirstlane_b32 s8, v8
	s_mov_b64 s[10:11], exec
	s_waitcnt vmcnt(1)
	v_readfirstlane_b32 s12, v10
	v_readfirstlane_b32 s13, v11
	s_and_b64 s[12:13], s[12:13], s[8:9]
	s_mul_i32 s14, s13, 24
	s_mul_hi_u32 s15, s12, 24
	s_mul_i32 s16, s12, 24
	s_add_i32 s14, s15, s14
	v_mov_b32_e32 v3, s14
	s_waitcnt vmcnt(0)
	v_add_co_u32_e32 v8, vcc, s16, v4
	v_addc_co_u32_e32 v9, vcc, v5, v3, vcc
	s_and_saveexec_b64 s[14:15], s[4:5]
	s_cbranch_execz .LBB6_1096
; %bb.1095:
	v_mov_b32_e32 v10, s10
	v_mov_b32_e32 v11, s11
	;; [unrolled: 1-line block ×4, first 2 shown]
	global_store_dwordx4 v[8:9], v[10:13], off offset:8
.LBB6_1096:
	s_or_b64 exec, exec, s[14:15]
	s_lshl_b64 s[10:11], s[12:13], 12
	v_mov_b32_e32 v3, s11
	v_add_co_u32_e32 v6, vcc, s10, v6
	v_addc_co_u32_e32 v7, vcc, v7, v3, vcc
	s_movk_i32 s10, 0xff1d
	v_and_or_b32 v0, v0, s10, 34
	s_mov_b32 s12, 0
	v_mov_b32_e32 v3, v2
	v_readfirstlane_b32 s10, v6
	v_readfirstlane_b32 s11, v7
	s_mov_b32 s13, s12
	s_mov_b32 s14, s12
	;; [unrolled: 1-line block ×3, first 2 shown]
	s_nop 1
	global_store_dwordx4 v29, v[0:3], s[10:11]
	s_nop 0
	v_mov_b32_e32 v0, s12
	v_mov_b32_e32 v1, s13
	v_mov_b32_e32 v2, s14
	v_mov_b32_e32 v3, s15
	global_store_dwordx4 v29, v[0:3], s[10:11] offset:16
	global_store_dwordx4 v29, v[0:3], s[10:11] offset:32
	;; [unrolled: 1-line block ×3, first 2 shown]
	s_and_saveexec_b64 s[10:11], s[4:5]
	s_cbranch_execz .LBB6_1104
; %bb.1097:
	v_mov_b32_e32 v6, 0
	global_load_dwordx2 v[12:13], v6, s[6:7] offset:32 glc
	global_load_dwordx2 v[0:1], v6, s[6:7] offset:40
	v_mov_b32_e32 v10, s8
	v_mov_b32_e32 v11, s9
	s_waitcnt vmcnt(0)
	v_readfirstlane_b32 s12, v0
	v_readfirstlane_b32 s13, v1
	s_and_b64 s[12:13], s[12:13], s[8:9]
	s_mul_i32 s13, s13, 24
	s_mul_hi_u32 s14, s12, 24
	s_mul_i32 s12, s12, 24
	s_add_i32 s13, s14, s13
	v_mov_b32_e32 v0, s13
	v_add_co_u32_e32 v4, vcc, s12, v4
	v_addc_co_u32_e32 v5, vcc, v5, v0, vcc
	global_store_dwordx2 v[4:5], v[12:13], off
	s_waitcnt vmcnt(0)
	global_atomic_cmpswap_x2 v[2:3], v6, v[10:13], s[6:7] offset:32 glc
	s_waitcnt vmcnt(0)
	v_cmp_ne_u64_e32 vcc, v[2:3], v[12:13]
	s_and_saveexec_b64 s[12:13], vcc
	s_cbranch_execz .LBB6_1100
; %bb.1098:
	s_mov_b64 s[14:15], 0
.LBB6_1099:                             ; =>This Inner Loop Header: Depth=1
	s_sleep 1
	global_store_dwordx2 v[4:5], v[2:3], off
	v_mov_b32_e32 v0, s8
	v_mov_b32_e32 v1, s9
	s_waitcnt vmcnt(0)
	global_atomic_cmpswap_x2 v[0:1], v6, v[0:3], s[6:7] offset:32 glc
	s_waitcnt vmcnt(0)
	v_cmp_eq_u64_e32 vcc, v[0:1], v[2:3]
	v_mov_b32_e32 v3, v1
	s_or_b64 s[14:15], vcc, s[14:15]
	v_mov_b32_e32 v2, v0
	s_andn2_b64 exec, exec, s[14:15]
	s_cbranch_execnz .LBB6_1099
.LBB6_1100:
	s_or_b64 exec, exec, s[12:13]
	v_mov_b32_e32 v3, 0
	global_load_dwordx2 v[0:1], v3, s[6:7] offset:16
	s_mov_b64 s[12:13], exec
	v_mbcnt_lo_u32_b32 v2, s12, 0
	v_mbcnt_hi_u32_b32 v2, s13, v2
	v_cmp_eq_u32_e32 vcc, 0, v2
	s_and_saveexec_b64 s[14:15], vcc
	s_cbranch_execz .LBB6_1102
; %bb.1101:
	s_bcnt1_i32_b64 s12, s[12:13]
	v_mov_b32_e32 v2, s12
	s_waitcnt vmcnt(0)
	global_atomic_add_x2 v[0:1], v[2:3], off offset:8
.LBB6_1102:
	s_or_b64 exec, exec, s[14:15]
	s_waitcnt vmcnt(0)
	global_load_dwordx2 v[2:3], v[0:1], off offset:16
	s_waitcnt vmcnt(0)
	v_cmp_eq_u64_e32 vcc, 0, v[2:3]
	s_cbranch_vccnz .LBB6_1104
; %bb.1103:
	global_load_dword v0, v[0:1], off offset:24
	v_mov_b32_e32 v1, 0
	s_waitcnt vmcnt(0)
	v_readfirstlane_b32 s12, v0
	s_and_b32 m0, s12, 0xffffff
	global_store_dwordx2 v[2:3], v[0:1], off
	s_sendmsg sendmsg(MSG_INTERRUPT)
.LBB6_1104:
	s_or_b64 exec, exec, s[10:11]
	s_branch .LBB6_1108
.LBB6_1105:                             ;   in Loop: Header=BB6_1108 Depth=1
	s_or_b64 exec, exec, s[10:11]
	v_readfirstlane_b32 s10, v0
	s_cmp_eq_u32 s10, 0
	s_cbranch_scc1 .LBB6_1107
; %bb.1106:                             ;   in Loop: Header=BB6_1108 Depth=1
	s_sleep 1
	s_cbranch_execnz .LBB6_1108
	s_branch .LBB6_1110
.LBB6_1107:
	s_branch .LBB6_1110
.LBB6_1108:                             ; =>This Inner Loop Header: Depth=1
	v_mov_b32_e32 v0, 1
	s_and_saveexec_b64 s[10:11], s[4:5]
	s_cbranch_execz .LBB6_1105
; %bb.1109:                             ;   in Loop: Header=BB6_1108 Depth=1
	global_load_dword v0, v[8:9], off offset:20 glc
	s_waitcnt vmcnt(0)
	buffer_wbinvl1_vol
	v_and_b32_e32 v0, 1, v0
	s_branch .LBB6_1105
.LBB6_1110:
	s_and_saveexec_b64 s[10:11], s[4:5]
	s_cbranch_execz .LBB6_1113
; %bb.1111:
	v_mov_b32_e32 v6, 0
	global_load_dwordx2 v[0:1], v6, s[6:7] offset:40
	global_load_dwordx2 v[9:10], v6, s[6:7] offset:24 glc
	global_load_dwordx2 v[2:3], v6, s[6:7]
	s_waitcnt vmcnt(2)
	v_readfirstlane_b32 s12, v0
	v_readfirstlane_b32 s13, v1
	s_add_u32 s14, s12, 1
	s_addc_u32 s15, s13, 0
	s_add_u32 s4, s14, s8
	s_addc_u32 s5, s15, s9
	s_cmp_eq_u64 s[4:5], 0
	s_cselect_b32 s5, s15, s5
	s_cselect_b32 s4, s14, s4
	s_and_b64 s[8:9], s[4:5], s[12:13]
	s_mul_i32 s9, s9, 24
	s_mul_hi_u32 s12, s8, 24
	s_mul_i32 s8, s8, 24
	s_add_i32 s9, s12, s9
	v_mov_b32_e32 v0, s9
	s_waitcnt vmcnt(0)
	v_add_co_u32_e32 v4, vcc, s8, v2
	v_addc_co_u32_e32 v5, vcc, v3, v0, vcc
	v_mov_b32_e32 v7, s4
	global_store_dwordx2 v[4:5], v[9:10], off
	v_mov_b32_e32 v8, s5
	s_waitcnt vmcnt(0)
	global_atomic_cmpswap_x2 v[2:3], v6, v[7:10], s[6:7] offset:24 glc
	s_mov_b64 s[8:9], 0
	s_waitcnt vmcnt(0)
	v_cmp_ne_u64_e32 vcc, v[2:3], v[9:10]
	s_and_b64 exec, exec, vcc
	s_cbranch_execz .LBB6_1113
.LBB6_1112:                             ; =>This Inner Loop Header: Depth=1
	s_sleep 1
	global_store_dwordx2 v[4:5], v[2:3], off
	v_mov_b32_e32 v0, s4
	v_mov_b32_e32 v1, s5
	s_waitcnt vmcnt(0)
	global_atomic_cmpswap_x2 v[0:1], v6, v[0:3], s[6:7] offset:24 glc
	s_waitcnt vmcnt(0)
	v_cmp_eq_u64_e32 vcc, v[0:1], v[2:3]
	v_mov_b32_e32 v3, v1
	s_or_b64 s[8:9], vcc, s[8:9]
	v_mov_b32_e32 v2, v0
	s_andn2_b64 exec, exec, s[8:9]
	s_cbranch_execnz .LBB6_1112
.LBB6_1113:
	s_or_b64 exec, exec, s[10:11]
.LBB6_1114:
	s_getpc_b64 s[4:5]
	s_add_u32 s4, s4, .str.29@rel32@lo+4
	s_addc_u32 s5, s5, .str.29@rel32@hi+12
	s_getpc_b64 s[6:7]
	s_add_u32 s6, s6, .str.19@rel32@lo+4
	s_addc_u32 s7, s7, .str.19@rel32@hi+12
	s_getpc_b64 s[10:11]
	s_add_u32 s10, s10, __PRETTY_FUNCTION__._ZN7VecsMemIjLi8192EE5fetchEi@rel32@lo+4
	s_addc_u32 s11, s11, __PRETTY_FUNCTION__._ZN7VecsMemIjLi8192EE5fetchEi@rel32@hi+12
	s_getpc_b64 s[12:13]
	s_add_u32 s12, s12, __assert_fail@rel32@lo+4
	s_addc_u32 s13, s13, __assert_fail@rel32@hi+12
	s_mov_b64 s[8:9], s[64:65]
	s_waitcnt vmcnt(0)
	v_mov_b32_e32 v0, s4
	v_mov_b32_e32 v1, s5
	;; [unrolled: 1-line block ×7, first 2 shown]
	s_swappc_b64 s[30:31], s[12:13]
	s_or_b64 s[4:5], s[84:85], exec
.LBB6_1115:
	s_or_b64 exec, exec, s[40:41]
	s_andn2_b64 s[6:7], s[84:85], exec
	s_and_b64 s[4:5], s[4:5], exec
	s_or_b64 s[96:97], s[6:7], s[4:5]
	s_orn2_b64 s[4:5], s[26:27], exec
.LBB6_1116:
	s_or_b64 exec, exec, s[28:29]
	s_mov_b64 s[6:7], 0
                                        ; implicit-def: $vgpr41
	s_mov_b64 s[8:9], exec
	v_writelane_b32 v62, s8, 48
	v_writelane_b32 v62, s9, 49
	s_and_b64 s[4:5], s[8:9], s[4:5]
	s_mov_b64 exec, s[4:5]
	s_cbranch_execz .LBB6_1343
; %bb.1117:
	buffer_load_dword v0, off, s[0:3], s33 offset:168 ; 4-byte Folded Reload
	buffer_load_dword v1, off, s[0:3], s33 offset:172 ; 4-byte Folded Reload
	s_mov_b32 s10, 0
	v_cmp_lt_i32_e32 vcc, 0, v46
	s_mov_b64 s[6:7], -1
	s_waitcnt vmcnt(0)
	buffer_store_dword v1, off, s[0:3], s33 offset:84
	buffer_store_dword v0, off, s[0:3], s33 offset:80
	s_and_saveexec_b64 s[4:5], vcc
	s_cbranch_execz .LBB6_1125
; %bb.1118:
	v_not_b32_e32 v4, v55
	v_mov_b32_e32 v0, 0
	s_mov_b64 s[6:7], 0
	v_mov_b32_e32 v5, 0
	s_branch .LBB6_1120
.LBB6_1119:                             ;   in Loop: Header=BB6_1120 Depth=1
	s_or_b64 exec, exec, s[8:9]
	v_ashrrev_i32_e32 v1, 31, v0
	v_lshlrev_b64 v[0:1], 2, v[0:1]
	s_add_i32 s10, s10, 1
	s_waitcnt vmcnt(1)
	v_add_co_u32_e32 v0, vcc, v2, v0
	s_waitcnt vmcnt(0)
	v_addc_co_u32_e32 v1, vcc, v3, v1, vcc
	flat_store_dword v[0:1], v7
	flat_load_dword v0, v[53:54] offset:4
	v_add_co_u32_e32 v58, vcc, 4, v58
	v_addc_co_u32_e32 v59, vcc, 0, v59, vcc
	s_waitcnt vmcnt(0) lgkmcnt(0)
	v_cmp_ge_i32_e32 vcc, s10, v0
	s_or_b64 s[6:7], vcc, s[6:7]
	v_mov_b32_e32 v0, v6
	s_andn2_b64 exec, exec, s[6:7]
	s_cbranch_execz .LBB6_1124
.LBB6_1120:                             ; =>This Inner Loop Header: Depth=1
	flat_load_dword v7, v[58:59]
                                        ; implicit-def: $vgpr6
	s_waitcnt vmcnt(0) lgkmcnt(0)
	v_and_b32_e32 v1, v7, v55
	v_cmp_ne_u32_e32 vcc, 0, v1
	s_and_saveexec_b64 s[8:9], vcc
	s_xor_b64 s[8:9], exec, s[8:9]
	s_cbranch_execz .LBB6_1122
; %bb.1121:                             ;   in Loop: Header=BB6_1120 Depth=1
	v_and_b32_e32 v7, v7, v4
	v_add_u32_e32 v6, 1, v0
	buffer_store_dword v6, off, s[0:3], s33 offset:60
.LBB6_1122:                             ;   in Loop: Header=BB6_1120 Depth=1
	s_or_saveexec_b64 s[8:9], s[8:9]
	v_mov_b32_e32 v2, v60
	v_mov_b32_e32 v8, v5
	;; [unrolled: 1-line block ×3, first 2 shown]
	s_xor_b64 exec, exec, s[8:9]
	s_cbranch_execz .LBB6_1119
; %bb.1123:                             ;   in Loop: Header=BB6_1120 Depth=1
	v_add_u32_e32 v8, 1, v5
	buffer_store_dword v8, off, s[0:3], s33 offset:76
	buffer_load_dword v2, off, s[0:3], s33 offset:168 ; 4-byte Folded Reload
	buffer_load_dword v3, off, s[0:3], s33 offset:172 ; 4-byte Folded Reload
	v_mov_b32_e32 v6, v0
	v_mov_b32_e32 v0, v5
	;; [unrolled: 1-line block ×3, first 2 shown]
	s_branch .LBB6_1119
.LBB6_1124:
	s_or_b64 exec, exec, s[6:7]
	v_cmp_eq_u32_e32 vcc, 0, v8
	s_orn2_b64 s[6:7], vcc, exec
.LBB6_1125:
	s_or_b64 exec, exec, s[4:5]
	buffer_load_dword v0, off, s[0:3], s33 offset:176 ; 4-byte Folded Reload
	buffer_load_dword v1, off, s[0:3], s33 offset:180 ; 4-byte Folded Reload
	s_xor_b64 s[54:55], s[6:7], -1
	s_getpc_b64 s[4:5]
	s_add_u32 s4, s4, _ZN3sop23sopFactorTrivialCubeRecEjiiPN8subgUtil4SubgILi256EEE@rel32@lo+4
	s_addc_u32 s5, s5, _ZN3sop23sopFactorTrivialCubeRecEjiiPN8subgUtil4SubgILi256EEE@rel32@hi+12
	s_mov_b64 s[8:9], s[64:65]
	v_mov_b32_e32 v2, v47
	v_mov_b32_e32 v3, v42
	;; [unrolled: 1-line block ×3, first 2 shown]
	s_mov_b64 s[86:87], src_private_base
	s_waitcnt vmcnt(0)
	flat_load_dword v0, v[0:1] offset:4
	v_mov_b32_e32 v1, 0
	s_swappc_b64 s[30:31], s[4:5]
	v_mov_b32_e32 v40, v0
	v_lshrrev_b32_e64 v0, 6, s33
	s_getpc_b64 s[4:5]
	s_add_u32 s4, s4, _ZN3sop12sopFactorRecEPNS_3SopEiP7VecsMemIjLi8192EEPN8subgUtil4SubgILi256EEE@rel32@lo+4
	s_addc_u32 s5, s5, _ZN3sop12sopFactorRecEPNS_3SopEiP7VecsMemIjLi8192EEPN8subgUtil4SubgILi256EEE@rel32@hi+12
	s_mov_b64 s[8:9], s[64:65]
	v_add_u32_e32 v0, 56, v0
	v_mov_b32_e32 v1, s87
	v_mov_b32_e32 v2, v47
	;; [unrolled: 1-line block ×6, first 2 shown]
	s_swappc_b64 s[30:31], s[4:5]
	flat_load_dword v1, v[42:43]
	s_movk_i32 s4, 0xff
	s_mov_b64 s[34:35], s[96:97]
	s_waitcnt vmcnt(0) lgkmcnt(0)
	v_cmp_lt_i32_e32 vcc, s4, v1
	s_and_saveexec_b64 s[4:5], vcc
	s_xor_b64 s[26:27], exec, s[4:5]
	s_cbranch_execz .LBB6_1127
; %bb.1126:
	s_getpc_b64 s[4:5]
	s_add_u32 s4, s4, .str.43@rel32@lo+4
	s_addc_u32 s5, s5, .str.43@rel32@hi+12
	s_getpc_b64 s[6:7]
	s_add_u32 s6, s6, .str.44@rel32@lo+4
	s_addc_u32 s7, s7, .str.44@rel32@hi+12
	s_getpc_b64 s[10:11]
	s_add_u32 s10, s10, __PRETTY_FUNCTION__._ZN8subgUtil4SubgILi256EE10addNodeAndEii@rel32@lo+4
	s_addc_u32 s11, s11, __PRETTY_FUNCTION__._ZN8subgUtil4SubgILi256EE10addNodeAndEii@rel32@hi+12
	s_getpc_b64 s[12:13]
	s_add_u32 s12, s12, __assert_fail@rel32@lo+4
	s_addc_u32 s13, s13, __assert_fail@rel32@hi+12
	s_mov_b64 s[8:9], s[64:65]
	v_mov_b32_e32 v0, s4
	v_mov_b32_e32 v1, s5
	;; [unrolled: 1-line block ×7, first 2 shown]
	s_swappc_b64 s[30:31], s[12:13]
	s_or_b64 s[34:35], s[96:97], exec
                                        ; implicit-def: $vgpr1
                                        ; implicit-def: $vgpr40
                                        ; implicit-def: $vgpr0
                                        ; implicit-def: $vgpr42_vgpr43
                                        ; implicit-def: $vgpr44
                                        ; implicit-def: $vgpr47
.LBB6_1127:
	s_or_saveexec_b64 s[36:37], s[26:27]
	s_mov_b64 s[4:5], 0
                                        ; implicit-def: $vgpr41
	s_xor_b64 exec, exec, s[36:37]
	s_cbranch_execz .LBB6_1342
; %bb.1128:
	v_or_b32_e32 v2, v0, v40
	v_cmp_lt_i32_e32 vcc, -1, v2
	s_mov_b64 s[26:27], 0
	s_mov_b64 s[28:29], s[34:35]
                                        ; implicit-def: $vgpr41
	s_and_saveexec_b64 s[4:5], vcc
	s_xor_b64 s[38:39], exec, s[4:5]
	s_cbranch_execz .LBB6_1339
; %bb.1129:
	v_ashrrev_i32_e32 v2, 31, v1
	v_lshlrev_b64 v[5:6], 3, v[1:2]
	v_min_i32_e32 v4, v40, v0
	v_max_i32_e32 v0, v40, v0
	v_add_co_u32_e32 v5, vcc, v42, v5
	v_lshlrev_b32_e32 v3, 1, v0
	v_add_u32_e32 v0, 1, v1
	v_addc_co_u32_e32 v6, vcc, v43, v6, vcc
	v_lshlrev_b32_e32 v41, 1, v1
	s_mov_b64 s[6:7], -1
	s_mov_b64 s[4:5], s[34:35]
	flat_store_dword v[42:43], v0
	flat_store_dwordx2 v[5:6], v[3:4] offset:8
	s_and_saveexec_b64 s[48:49], s[54:55]
	s_cbranch_execz .LBB6_1336
; %bb.1130:
	s_mov_b64 s[4:5], src_private_base
	v_lshrrev_b32_e64 v0, 6, s33
	s_getpc_b64 s[6:7]
	s_add_u32 s6, s6, _ZN3sop12sopFactorRecEPNS_3SopEiP7VecsMemIjLi8192EEPN8subgUtil4SubgILi256EEE@rel32@lo+4
	s_addc_u32 s7, s7, _ZN3sop12sopFactorRecEPNS_3SopEiP7VecsMemIjLi8192EEPN8subgUtil4SubgILi256EEE@rel32@hi+12
	s_mov_b64 s[8:9], s[64:65]
	v_add_u32_e32 v0, 0x48, v0
	v_mov_b32_e32 v1, s5
	v_mov_b32_e32 v2, v47
	;; [unrolled: 1-line block ×6, first 2 shown]
	s_swappc_b64 s[30:31], s[6:7]
	flat_load_dword v1, v[42:43]
	s_movk_i32 s4, 0xff
	s_mov_b64 s[26:27], s[34:35]
	s_waitcnt vmcnt(0) lgkmcnt(0)
	v_cmp_lt_i32_e32 vcc, s4, v1
	s_and_saveexec_b64 s[4:5], vcc
	s_xor_b64 s[28:29], exec, s[4:5]
	s_cbranch_execz .LBB6_1132
; %bb.1131:
	s_getpc_b64 s[4:5]
	s_add_u32 s4, s4, .str.43@rel32@lo+4
	s_addc_u32 s5, s5, .str.43@rel32@hi+12
	s_getpc_b64 s[6:7]
	s_add_u32 s6, s6, .str.44@rel32@lo+4
	s_addc_u32 s7, s7, .str.44@rel32@hi+12
	s_getpc_b64 s[10:11]
	s_add_u32 s10, s10, __PRETTY_FUNCTION__._ZN8subgUtil4SubgILi256EE9addNodeOrEii@rel32@lo+4
	s_addc_u32 s11, s11, __PRETTY_FUNCTION__._ZN8subgUtil4SubgILi256EE9addNodeOrEii@rel32@hi+12
	s_getpc_b64 s[12:13]
	s_add_u32 s12, s12, __assert_fail@rel32@lo+4
	s_addc_u32 s13, s13, __assert_fail@rel32@hi+12
	s_mov_b64 s[8:9], s[64:65]
	v_mov_b32_e32 v0, s4
	v_mov_b32_e32 v1, s5
	;; [unrolled: 1-line block ×7, first 2 shown]
	s_swappc_b64 s[30:31], s[12:13]
	s_or_b64 s[26:27], s[34:35], exec
                                        ; implicit-def: $vgpr0
                                        ; implicit-def: $vgpr41
                                        ; implicit-def: $vgpr42_vgpr43
.LBB6_1132:
	s_or_saveexec_b64 s[28:29], s[28:29]
	s_mov_b64 s[6:7], 0
	s_xor_b64 exec, exec, s[28:29]
	s_cbranch_execz .LBB6_1335
; %bb.1133:
	v_max_i32_e32 v3, v41, v0
	v_min_i32_e32 v36, v41, v0
	v_xor_b32_e32 v30, 1, v36
	v_xor_b32_e32 v33, 1, v3
	v_cmp_gt_i32_e64 s[4:5], v30, v33
	s_and_saveexec_b64 s[8:9], s[4:5]
	s_cbranch_execz .LBB6_1330
; %bb.1134:
	s_load_dwordx2 s[10:11], s[64:65], 0x50
	v_mbcnt_lo_u32_b32 v1, -1, 0
	v_mbcnt_hi_u32_b32 v35, -1, v1
	v_readfirstlane_b32 s6, v35
	v_mov_b32_e32 v1, 0
	v_mov_b32_e32 v2, 0
	v_cmp_eq_u32_e64 s[6:7], s6, v35
	s_and_saveexec_b64 s[12:13], s[6:7]
	s_cbranch_execz .LBB6_1140
; %bb.1135:
	v_mov_b32_e32 v4, 0
	s_waitcnt lgkmcnt(0)
	global_load_dwordx2 v[7:8], v4, s[10:11] offset:24 glc
	s_waitcnt vmcnt(0)
	buffer_wbinvl1_vol
	global_load_dwordx2 v[1:2], v4, s[10:11] offset:40
	global_load_dwordx2 v[5:6], v4, s[10:11]
	s_waitcnt vmcnt(1)
	v_and_b32_e32 v1, v1, v7
	v_and_b32_e32 v2, v2, v8
	v_mul_lo_u32 v2, v2, 24
	v_mul_hi_u32 v9, v1, 24
	v_mul_lo_u32 v1, v1, 24
	v_add_u32_e32 v2, v9, v2
	s_waitcnt vmcnt(0)
	v_add_co_u32_e32 v1, vcc, v5, v1
	v_addc_co_u32_e32 v2, vcc, v6, v2, vcc
	global_load_dwordx2 v[5:6], v[1:2], off glc
	s_waitcnt vmcnt(0)
	global_atomic_cmpswap_x2 v[1:2], v4, v[5:8], s[10:11] offset:24 glc
	s_waitcnt vmcnt(0)
	buffer_wbinvl1_vol
	v_cmp_ne_u64_e32 vcc, v[1:2], v[7:8]
	s_and_saveexec_b64 s[14:15], vcc
	s_cbranch_execz .LBB6_1139
; %bb.1136:
	s_mov_b64 s[16:17], 0
.LBB6_1137:                             ; =>This Inner Loop Header: Depth=1
	s_sleep 1
	global_load_dwordx2 v[5:6], v4, s[10:11] offset:40
	global_load_dwordx2 v[9:10], v4, s[10:11]
	v_mov_b32_e32 v8, v2
	v_mov_b32_e32 v7, v1
	s_waitcnt vmcnt(1)
	v_and_b32_e32 v1, v5, v7
	s_waitcnt vmcnt(0)
	v_mad_u64_u32 v[1:2], s[18:19], v1, 24, v[9:10]
	v_and_b32_e32 v5, v6, v8
	v_mad_u64_u32 v[5:6], s[18:19], v5, 24, v[2:3]
	v_mov_b32_e32 v2, v5
	global_load_dwordx2 v[5:6], v[1:2], off glc
	s_waitcnt vmcnt(0)
	global_atomic_cmpswap_x2 v[1:2], v4, v[5:8], s[10:11] offset:24 glc
	s_waitcnt vmcnt(0)
	buffer_wbinvl1_vol
	v_cmp_eq_u64_e32 vcc, v[1:2], v[7:8]
	s_or_b64 s[16:17], vcc, s[16:17]
	s_andn2_b64 exec, exec, s[16:17]
	s_cbranch_execnz .LBB6_1137
; %bb.1138:
	s_or_b64 exec, exec, s[16:17]
.LBB6_1139:
	s_or_b64 exec, exec, s[14:15]
.LBB6_1140:
	s_or_b64 exec, exec, s[12:13]
	v_mov_b32_e32 v8, 0
	s_waitcnt lgkmcnt(0)
	global_load_dwordx2 v[9:10], v8, s[10:11] offset:40
	global_load_dwordx4 v[4:7], v8, s[10:11]
	v_readfirstlane_b32 s13, v2
	v_readfirstlane_b32 s12, v1
	s_mov_b64 s[14:15], exec
	s_waitcnt vmcnt(1)
	v_readfirstlane_b32 s16, v9
	v_readfirstlane_b32 s17, v10
	s_and_b64 s[16:17], s[16:17], s[12:13]
	s_mul_i32 s18, s17, 24
	s_mul_hi_u32 s19, s16, 24
	s_mul_i32 s20, s16, 24
	s_add_i32 s18, s19, s18
	v_mov_b32_e32 v2, s18
	s_waitcnt vmcnt(0)
	v_add_co_u32_e32 v1, vcc, s20, v4
	v_addc_co_u32_e32 v2, vcc, v5, v2, vcc
	s_and_saveexec_b64 s[18:19], s[6:7]
	s_cbranch_execz .LBB6_1142
; %bb.1141:
	v_mov_b32_e32 v9, s14
	v_mov_b32_e32 v10, s15
	;; [unrolled: 1-line block ×4, first 2 shown]
	global_store_dwordx4 v[1:2], v[9:12], off offset:8
.LBB6_1142:
	s_or_b64 exec, exec, s[18:19]
	s_lshl_b64 s[14:15], s[16:17], 12
	v_mov_b32_e32 v9, s15
	v_add_co_u32_e32 v6, vcc, s14, v6
	v_addc_co_u32_e32 v13, vcc, v7, v9, vcc
	v_lshlrev_b32_e32 v34, 6, v35
	s_mov_b32 s16, 0
	v_mov_b32_e32 v7, 33
	v_mov_b32_e32 v9, v8
	;; [unrolled: 1-line block ×3, first 2 shown]
	v_readfirstlane_b32 s14, v6
	v_readfirstlane_b32 s15, v13
	v_add_co_u32_e32 v11, vcc, v6, v34
	s_mov_b32 s17, s16
	s_mov_b32 s18, s16
	;; [unrolled: 1-line block ×3, first 2 shown]
	s_nop 0
	global_store_dwordx4 v34, v[7:10], s[14:15]
	v_mov_b32_e32 v6, s16
	v_addc_co_u32_e32 v12, vcc, 0, v13, vcc
	v_mov_b32_e32 v7, s17
	v_mov_b32_e32 v8, s18
	v_mov_b32_e32 v9, s19
	global_store_dwordx4 v34, v[6:9], s[14:15] offset:16
	global_store_dwordx4 v34, v[6:9], s[14:15] offset:32
	;; [unrolled: 1-line block ×3, first 2 shown]
	s_and_saveexec_b64 s[14:15], s[6:7]
	s_cbranch_execz .LBB6_1150
; %bb.1143:
	v_mov_b32_e32 v10, 0
	global_load_dwordx2 v[15:16], v10, s[10:11] offset:32 glc
	global_load_dwordx2 v[6:7], v10, s[10:11] offset:40
	v_mov_b32_e32 v13, s12
	v_mov_b32_e32 v14, s13
	s_waitcnt vmcnt(0)
	v_and_b32_e32 v6, s12, v6
	v_and_b32_e32 v7, s13, v7
	v_mul_lo_u32 v7, v7, 24
	v_mul_hi_u32 v8, v6, 24
	v_mul_lo_u32 v6, v6, 24
	v_add_u32_e32 v7, v8, v7
	v_add_co_u32_e32 v8, vcc, v4, v6
	v_addc_co_u32_e32 v9, vcc, v5, v7, vcc
	global_store_dwordx2 v[8:9], v[15:16], off
	s_waitcnt vmcnt(0)
	global_atomic_cmpswap_x2 v[6:7], v10, v[13:16], s[10:11] offset:32 glc
	s_waitcnt vmcnt(0)
	v_cmp_ne_u64_e32 vcc, v[6:7], v[15:16]
	s_and_saveexec_b64 s[16:17], vcc
	s_cbranch_execz .LBB6_1146
; %bb.1144:
	s_mov_b64 s[18:19], 0
.LBB6_1145:                             ; =>This Inner Loop Header: Depth=1
	s_sleep 1
	global_store_dwordx2 v[8:9], v[6:7], off
	v_mov_b32_e32 v4, s12
	v_mov_b32_e32 v5, s13
	s_waitcnt vmcnt(0)
	global_atomic_cmpswap_x2 v[4:5], v10, v[4:7], s[10:11] offset:32 glc
	s_waitcnt vmcnt(0)
	v_cmp_eq_u64_e32 vcc, v[4:5], v[6:7]
	v_mov_b32_e32 v7, v5
	s_or_b64 s[18:19], vcc, s[18:19]
	v_mov_b32_e32 v6, v4
	s_andn2_b64 exec, exec, s[18:19]
	s_cbranch_execnz .LBB6_1145
.LBB6_1146:
	s_or_b64 exec, exec, s[16:17]
	v_mov_b32_e32 v7, 0
	global_load_dwordx2 v[4:5], v7, s[10:11] offset:16
	s_mov_b64 s[16:17], exec
	v_mbcnt_lo_u32_b32 v6, s16, 0
	v_mbcnt_hi_u32_b32 v6, s17, v6
	v_cmp_eq_u32_e32 vcc, 0, v6
	s_and_saveexec_b64 s[18:19], vcc
	s_cbranch_execz .LBB6_1148
; %bb.1147:
	s_bcnt1_i32_b64 s16, s[16:17]
	v_mov_b32_e32 v6, s16
	s_waitcnt vmcnt(0)
	global_atomic_add_x2 v[4:5], v[6:7], off offset:8
.LBB6_1148:
	s_or_b64 exec, exec, s[18:19]
	s_waitcnt vmcnt(0)
	global_load_dwordx2 v[6:7], v[4:5], off offset:16
	s_waitcnt vmcnt(0)
	v_cmp_eq_u64_e32 vcc, 0, v[6:7]
	s_cbranch_vccnz .LBB6_1150
; %bb.1149:
	global_load_dword v4, v[4:5], off offset:24
	v_mov_b32_e32 v5, 0
	s_waitcnt vmcnt(0)
	v_readfirstlane_b32 s16, v4
	s_and_b32 m0, s16, 0xffffff
	global_store_dwordx2 v[6:7], v[4:5], off
	s_sendmsg sendmsg(MSG_INTERRUPT)
.LBB6_1150:
	s_or_b64 exec, exec, s[14:15]
	s_branch .LBB6_1154
.LBB6_1151:                             ;   in Loop: Header=BB6_1154 Depth=1
	s_or_b64 exec, exec, s[14:15]
	v_readfirstlane_b32 s14, v4
	s_cmp_eq_u32 s14, 0
	s_cbranch_scc1 .LBB6_1153
; %bb.1152:                             ;   in Loop: Header=BB6_1154 Depth=1
	s_sleep 1
	s_cbranch_execnz .LBB6_1154
	s_branch .LBB6_1156
.LBB6_1153:
	s_branch .LBB6_1156
.LBB6_1154:                             ; =>This Inner Loop Header: Depth=1
	v_mov_b32_e32 v4, 1
	s_and_saveexec_b64 s[14:15], s[6:7]
	s_cbranch_execz .LBB6_1151
; %bb.1155:                             ;   in Loop: Header=BB6_1154 Depth=1
	global_load_dword v4, v[1:2], off offset:20 glc
	s_waitcnt vmcnt(0)
	buffer_wbinvl1_vol
	v_and_b32_e32 v4, 1, v4
	s_branch .LBB6_1151
.LBB6_1156:
	global_load_dwordx2 v[4:5], v[11:12], off
	s_and_saveexec_b64 s[14:15], s[6:7]
	s_cbranch_execz .LBB6_1159
; %bb.1157:
	v_mov_b32_e32 v10, 0
	global_load_dwordx2 v[1:2], v10, s[10:11] offset:40
	global_load_dwordx2 v[13:14], v10, s[10:11] offset:24 glc
	global_load_dwordx2 v[6:7], v10, s[10:11]
	s_waitcnt vmcnt(2)
	v_readfirstlane_b32 s16, v1
	v_readfirstlane_b32 s17, v2
	s_add_u32 s18, s16, 1
	s_addc_u32 s19, s17, 0
	s_add_u32 s6, s18, s12
	s_addc_u32 s7, s19, s13
	s_cmp_eq_u64 s[6:7], 0
	s_cselect_b32 s7, s19, s7
	s_cselect_b32 s6, s18, s6
	s_and_b64 s[12:13], s[6:7], s[16:17]
	s_mul_i32 s13, s13, 24
	s_mul_hi_u32 s16, s12, 24
	s_mul_i32 s12, s12, 24
	s_add_i32 s13, s16, s13
	v_mov_b32_e32 v2, s13
	s_waitcnt vmcnt(0)
	v_add_co_u32_e32 v1, vcc, s12, v6
	v_addc_co_u32_e32 v2, vcc, v7, v2, vcc
	v_mov_b32_e32 v11, s6
	global_store_dwordx2 v[1:2], v[13:14], off
	v_mov_b32_e32 v12, s7
	s_waitcnt vmcnt(0)
	global_atomic_cmpswap_x2 v[8:9], v10, v[11:14], s[10:11] offset:24 glc
	s_mov_b64 s[12:13], 0
	s_waitcnt vmcnt(0)
	v_cmp_ne_u64_e32 vcc, v[8:9], v[13:14]
	s_and_b64 exec, exec, vcc
	s_cbranch_execz .LBB6_1159
.LBB6_1158:                             ; =>This Inner Loop Header: Depth=1
	s_sleep 1
	global_store_dwordx2 v[1:2], v[8:9], off
	v_mov_b32_e32 v6, s6
	v_mov_b32_e32 v7, s7
	s_waitcnt vmcnt(0)
	global_atomic_cmpswap_x2 v[6:7], v10, v[6:9], s[10:11] offset:24 glc
	s_waitcnt vmcnt(0)
	v_cmp_eq_u64_e32 vcc, v[6:7], v[8:9]
	v_mov_b32_e32 v9, v7
	s_or_b64 s[12:13], vcc, s[12:13]
	v_mov_b32_e32 v8, v6
	s_andn2_b64 exec, exec, s[12:13]
	s_cbranch_execnz .LBB6_1158
.LBB6_1159:
	s_or_b64 exec, exec, s[14:15]
	s_getpc_b64 s[12:13]
	s_add_u32 s12, s12, .str.45@rel32@lo+4
	s_addc_u32 s13, s13, .str.45@rel32@hi+12
	s_cmp_lg_u64 s[12:13], 0
	s_cbranch_scc0 .LBB6_1252
; %bb.1160:
	s_waitcnt vmcnt(0)
	v_and_b32_e32 v37, 2, v4
	v_mov_b32_e32 v2, 0
	v_and_b32_e32 v6, -3, v4
	v_mov_b32_e32 v7, v5
	s_mov_b64 s[14:15], 7
	v_mov_b32_e32 v12, 2
	v_mov_b32_e32 v13, 1
	s_branch .LBB6_1162
.LBB6_1161:                             ;   in Loop: Header=BB6_1162 Depth=1
	s_or_b64 exec, exec, s[20:21]
	s_sub_u32 s14, s14, s16
	s_subb_u32 s15, s15, s17
	s_add_u32 s12, s12, s16
	s_addc_u32 s13, s13, s17
	s_cmp_lg_u64 s[14:15], 0
	s_cbranch_scc0 .LBB6_1251
.LBB6_1162:                             ; =>This Loop Header: Depth=1
                                        ;     Child Loop BB6_1165 Depth 2
                                        ;     Child Loop BB6_1174 Depth 2
	;; [unrolled: 1-line block ×11, first 2 shown]
	v_cmp_lt_u64_e64 s[6:7], s[14:15], 56
	v_cmp_gt_u64_e64 s[18:19], s[14:15], 7
	s_and_b64 s[6:7], s[6:7], exec
	s_cselect_b32 s17, s15, 0
	s_cselect_b32 s16, s14, 56
	s_add_u32 s6, s12, 8
	s_addc_u32 s7, s13, 0
	s_and_b64 vcc, exec, s[18:19]
	s_cbranch_vccnz .LBB6_1166
; %bb.1163:                             ;   in Loop: Header=BB6_1162 Depth=1
	s_cmp_eq_u64 s[14:15], 0
	s_cbranch_scc1 .LBB6_1167
; %bb.1164:                             ;   in Loop: Header=BB6_1162 Depth=1
	v_mov_b32_e32 v8, 0
	s_lshl_b64 s[6:7], s[16:17], 3
	s_mov_b64 s[18:19], 0
	v_mov_b32_e32 v9, 0
	s_mov_b64 s[20:21], s[12:13]
.LBB6_1165:                             ;   Parent Loop BB6_1162 Depth=1
                                        ; =>  This Inner Loop Header: Depth=2
	global_load_ubyte v1, v2, s[20:21]
	s_waitcnt vmcnt(0)
	v_and_b32_e32 v1, 0xffff, v1
	v_lshlrev_b64 v[10:11], s18, v[1:2]
	s_add_u32 s18, s18, 8
	s_addc_u32 s19, s19, 0
	s_add_u32 s20, s20, 1
	s_addc_u32 s21, s21, 0
	v_or_b32_e32 v8, v10, v8
	s_cmp_lg_u32 s6, s18
	v_or_b32_e32 v9, v11, v9
	s_cbranch_scc1 .LBB6_1165
	s_branch .LBB6_1168
.LBB6_1166:                             ;   in Loop: Header=BB6_1162 Depth=1
	s_mov_b64 s[18:19], -1
	s_branch .LBB6_1169
.LBB6_1167:                             ;   in Loop: Header=BB6_1162 Depth=1
	v_mov_b32_e32 v8, 0
	v_mov_b32_e32 v9, 0
.LBB6_1168:                             ;   in Loop: Header=BB6_1162 Depth=1
	s_mov_b64 s[18:19], 0
	s_mov_b64 s[6:7], s[12:13]
.LBB6_1169:                             ;   in Loop: Header=BB6_1162 Depth=1
	s_andn2_b64 vcc, exec, s[18:19]
	s_mov_b32 s22, 0
	s_cbranch_vccnz .LBB6_1171
; %bb.1170:                             ;   in Loop: Header=BB6_1162 Depth=1
	global_load_dwordx2 v[8:9], v2, s[12:13]
	s_add_i32 s22, s16, -8
.LBB6_1171:                             ;   in Loop: Header=BB6_1162 Depth=1
	s_add_u32 s18, s6, 8
	s_addc_u32 s19, s7, 0
	s_cmp_gt_u32 s22, 7
	s_cbranch_scc1 .LBB6_1175
; %bb.1172:                             ;   in Loop: Header=BB6_1162 Depth=1
	s_cmp_eq_u32 s22, 0
	s_cbranch_scc1 .LBB6_1176
; %bb.1173:                             ;   in Loop: Header=BB6_1162 Depth=1
	v_mov_b32_e32 v14, 0
	s_mov_b64 s[18:19], 0
	v_mov_b32_e32 v15, 0
	s_mov_b64 s[20:21], 0
.LBB6_1174:                             ;   Parent Loop BB6_1162 Depth=1
                                        ; =>  This Inner Loop Header: Depth=2
	s_add_u32 s24, s6, s20
	s_addc_u32 s25, s7, s21
	global_load_ubyte v1, v2, s[24:25]
	s_add_u32 s20, s20, 1
	s_addc_u32 s21, s21, 0
	s_waitcnt vmcnt(0)
	v_and_b32_e32 v1, 0xffff, v1
	v_lshlrev_b64 v[10:11], s18, v[1:2]
	s_add_u32 s18, s18, 8
	s_addc_u32 s19, s19, 0
	v_or_b32_e32 v14, v10, v14
	s_cmp_lg_u32 s22, s20
	v_or_b32_e32 v15, v11, v15
	s_cbranch_scc1 .LBB6_1174
	s_branch .LBB6_1177
.LBB6_1175:                             ;   in Loop: Header=BB6_1162 Depth=1
	s_mov_b64 s[20:21], -1
                                        ; implicit-def: $vgpr14_vgpr15
	s_branch .LBB6_1178
.LBB6_1176:                             ;   in Loop: Header=BB6_1162 Depth=1
	v_mov_b32_e32 v14, 0
	v_mov_b32_e32 v15, 0
.LBB6_1177:                             ;   in Loop: Header=BB6_1162 Depth=1
	s_mov_b64 s[20:21], 0
	s_mov_b64 s[18:19], s[6:7]
.LBB6_1178:                             ;   in Loop: Header=BB6_1162 Depth=1
	s_andn2_b64 vcc, exec, s[20:21]
	s_mov_b32 s23, 0
	s_cbranch_vccnz .LBB6_1180
; %bb.1179:                             ;   in Loop: Header=BB6_1162 Depth=1
	global_load_dwordx2 v[14:15], v2, s[6:7]
	s_add_i32 s23, s22, -8
.LBB6_1180:                             ;   in Loop: Header=BB6_1162 Depth=1
	s_add_u32 s6, s18, 8
	s_addc_u32 s7, s19, 0
	s_cmp_gt_u32 s23, 7
	s_cbranch_scc1 .LBB6_1184
; %bb.1181:                             ;   in Loop: Header=BB6_1162 Depth=1
	s_cmp_eq_u32 s23, 0
	s_cbranch_scc1 .LBB6_1185
; %bb.1182:                             ;   in Loop: Header=BB6_1162 Depth=1
	v_mov_b32_e32 v16, 0
	s_mov_b64 s[6:7], 0
	v_mov_b32_e32 v17, 0
	s_mov_b64 s[20:21], 0
.LBB6_1183:                             ;   Parent Loop BB6_1162 Depth=1
                                        ; =>  This Inner Loop Header: Depth=2
	s_add_u32 s24, s18, s20
	s_addc_u32 s25, s19, s21
	global_load_ubyte v1, v2, s[24:25]
	s_add_u32 s20, s20, 1
	s_addc_u32 s21, s21, 0
	s_waitcnt vmcnt(0)
	v_and_b32_e32 v1, 0xffff, v1
	v_lshlrev_b64 v[10:11], s6, v[1:2]
	s_add_u32 s6, s6, 8
	s_addc_u32 s7, s7, 0
	v_or_b32_e32 v16, v10, v16
	s_cmp_lg_u32 s23, s20
	v_or_b32_e32 v17, v11, v17
	s_cbranch_scc1 .LBB6_1183
	s_branch .LBB6_1186
.LBB6_1184:                             ;   in Loop: Header=BB6_1162 Depth=1
	s_mov_b64 s[20:21], -1
	s_branch .LBB6_1187
.LBB6_1185:                             ;   in Loop: Header=BB6_1162 Depth=1
	v_mov_b32_e32 v16, 0
	v_mov_b32_e32 v17, 0
.LBB6_1186:                             ;   in Loop: Header=BB6_1162 Depth=1
	s_mov_b64 s[20:21], 0
	s_mov_b64 s[6:7], s[18:19]
.LBB6_1187:                             ;   in Loop: Header=BB6_1162 Depth=1
	s_andn2_b64 vcc, exec, s[20:21]
	s_mov_b32 s22, 0
	s_cbranch_vccnz .LBB6_1189
; %bb.1188:                             ;   in Loop: Header=BB6_1162 Depth=1
	global_load_dwordx2 v[16:17], v2, s[18:19]
	s_add_i32 s22, s23, -8
.LBB6_1189:                             ;   in Loop: Header=BB6_1162 Depth=1
	s_add_u32 s18, s6, 8
	s_addc_u32 s19, s7, 0
	s_cmp_gt_u32 s22, 7
	s_cbranch_scc1 .LBB6_1193
; %bb.1190:                             ;   in Loop: Header=BB6_1162 Depth=1
	s_cmp_eq_u32 s22, 0
	s_cbranch_scc1 .LBB6_1194
; %bb.1191:                             ;   in Loop: Header=BB6_1162 Depth=1
	v_mov_b32_e32 v18, 0
	s_mov_b64 s[18:19], 0
	v_mov_b32_e32 v19, 0
	s_mov_b64 s[20:21], 0
.LBB6_1192:                             ;   Parent Loop BB6_1162 Depth=1
                                        ; =>  This Inner Loop Header: Depth=2
	s_add_u32 s24, s6, s20
	s_addc_u32 s25, s7, s21
	global_load_ubyte v1, v2, s[24:25]
	s_add_u32 s20, s20, 1
	s_addc_u32 s21, s21, 0
	s_waitcnt vmcnt(0)
	v_and_b32_e32 v1, 0xffff, v1
	v_lshlrev_b64 v[10:11], s18, v[1:2]
	s_add_u32 s18, s18, 8
	s_addc_u32 s19, s19, 0
	v_or_b32_e32 v18, v10, v18
	s_cmp_lg_u32 s22, s20
	v_or_b32_e32 v19, v11, v19
	s_cbranch_scc1 .LBB6_1192
	s_branch .LBB6_1195
.LBB6_1193:                             ;   in Loop: Header=BB6_1162 Depth=1
	s_mov_b64 s[20:21], -1
                                        ; implicit-def: $vgpr18_vgpr19
	s_branch .LBB6_1196
.LBB6_1194:                             ;   in Loop: Header=BB6_1162 Depth=1
	v_mov_b32_e32 v18, 0
	v_mov_b32_e32 v19, 0
.LBB6_1195:                             ;   in Loop: Header=BB6_1162 Depth=1
	s_mov_b64 s[20:21], 0
	s_mov_b64 s[18:19], s[6:7]
.LBB6_1196:                             ;   in Loop: Header=BB6_1162 Depth=1
	s_andn2_b64 vcc, exec, s[20:21]
	s_mov_b32 s23, 0
	s_cbranch_vccnz .LBB6_1198
; %bb.1197:                             ;   in Loop: Header=BB6_1162 Depth=1
	global_load_dwordx2 v[18:19], v2, s[6:7]
	s_add_i32 s23, s22, -8
.LBB6_1198:                             ;   in Loop: Header=BB6_1162 Depth=1
	s_add_u32 s6, s18, 8
	s_addc_u32 s7, s19, 0
	s_cmp_gt_u32 s23, 7
	s_cbranch_scc1 .LBB6_1202
; %bb.1199:                             ;   in Loop: Header=BB6_1162 Depth=1
	s_cmp_eq_u32 s23, 0
	s_cbranch_scc1 .LBB6_1203
; %bb.1200:                             ;   in Loop: Header=BB6_1162 Depth=1
	v_mov_b32_e32 v20, 0
	s_mov_b64 s[6:7], 0
	v_mov_b32_e32 v21, 0
	s_mov_b64 s[20:21], 0
.LBB6_1201:                             ;   Parent Loop BB6_1162 Depth=1
                                        ; =>  This Inner Loop Header: Depth=2
	s_add_u32 s24, s18, s20
	s_addc_u32 s25, s19, s21
	global_load_ubyte v1, v2, s[24:25]
	s_add_u32 s20, s20, 1
	s_addc_u32 s21, s21, 0
	s_waitcnt vmcnt(0)
	v_and_b32_e32 v1, 0xffff, v1
	v_lshlrev_b64 v[10:11], s6, v[1:2]
	s_add_u32 s6, s6, 8
	s_addc_u32 s7, s7, 0
	v_or_b32_e32 v20, v10, v20
	s_cmp_lg_u32 s23, s20
	v_or_b32_e32 v21, v11, v21
	s_cbranch_scc1 .LBB6_1201
	s_branch .LBB6_1204
.LBB6_1202:                             ;   in Loop: Header=BB6_1162 Depth=1
	s_mov_b64 s[20:21], -1
	s_branch .LBB6_1205
.LBB6_1203:                             ;   in Loop: Header=BB6_1162 Depth=1
	v_mov_b32_e32 v20, 0
	v_mov_b32_e32 v21, 0
.LBB6_1204:                             ;   in Loop: Header=BB6_1162 Depth=1
	s_mov_b64 s[20:21], 0
	s_mov_b64 s[6:7], s[18:19]
.LBB6_1205:                             ;   in Loop: Header=BB6_1162 Depth=1
	s_andn2_b64 vcc, exec, s[20:21]
	s_mov_b32 s22, 0
	s_cbranch_vccnz .LBB6_1207
; %bb.1206:                             ;   in Loop: Header=BB6_1162 Depth=1
	global_load_dwordx2 v[20:21], v2, s[18:19]
	s_add_i32 s22, s23, -8
.LBB6_1207:                             ;   in Loop: Header=BB6_1162 Depth=1
	s_add_u32 s18, s6, 8
	s_addc_u32 s19, s7, 0
	s_cmp_gt_u32 s22, 7
	s_cbranch_scc1 .LBB6_1211
; %bb.1208:                             ;   in Loop: Header=BB6_1162 Depth=1
	s_cmp_eq_u32 s22, 0
	s_cbranch_scc1 .LBB6_1212
; %bb.1209:                             ;   in Loop: Header=BB6_1162 Depth=1
	v_mov_b32_e32 v22, 0
	s_mov_b64 s[18:19], 0
	v_mov_b32_e32 v23, 0
	s_mov_b64 s[20:21], 0
.LBB6_1210:                             ;   Parent Loop BB6_1162 Depth=1
                                        ; =>  This Inner Loop Header: Depth=2
	s_add_u32 s24, s6, s20
	s_addc_u32 s25, s7, s21
	global_load_ubyte v1, v2, s[24:25]
	s_add_u32 s20, s20, 1
	s_addc_u32 s21, s21, 0
	s_waitcnt vmcnt(0)
	v_and_b32_e32 v1, 0xffff, v1
	v_lshlrev_b64 v[10:11], s18, v[1:2]
	s_add_u32 s18, s18, 8
	s_addc_u32 s19, s19, 0
	v_or_b32_e32 v22, v10, v22
	s_cmp_lg_u32 s22, s20
	v_or_b32_e32 v23, v11, v23
	s_cbranch_scc1 .LBB6_1210
	s_branch .LBB6_1213
.LBB6_1211:                             ;   in Loop: Header=BB6_1162 Depth=1
	s_mov_b64 s[20:21], -1
                                        ; implicit-def: $vgpr22_vgpr23
	s_branch .LBB6_1214
.LBB6_1212:                             ;   in Loop: Header=BB6_1162 Depth=1
	v_mov_b32_e32 v22, 0
	v_mov_b32_e32 v23, 0
.LBB6_1213:                             ;   in Loop: Header=BB6_1162 Depth=1
	s_mov_b64 s[20:21], 0
	s_mov_b64 s[18:19], s[6:7]
.LBB6_1214:                             ;   in Loop: Header=BB6_1162 Depth=1
	s_andn2_b64 vcc, exec, s[20:21]
	s_mov_b32 s23, 0
	s_cbranch_vccnz .LBB6_1216
; %bb.1215:                             ;   in Loop: Header=BB6_1162 Depth=1
	global_load_dwordx2 v[22:23], v2, s[6:7]
	s_add_i32 s23, s22, -8
.LBB6_1216:                             ;   in Loop: Header=BB6_1162 Depth=1
	s_cmp_gt_u32 s23, 7
	s_cbranch_scc1 .LBB6_1220
; %bb.1217:                             ;   in Loop: Header=BB6_1162 Depth=1
	s_cmp_eq_u32 s23, 0
	s_cbranch_scc1 .LBB6_1221
; %bb.1218:                             ;   in Loop: Header=BB6_1162 Depth=1
	v_mov_b32_e32 v24, 0
	s_mov_b64 s[6:7], 0
	v_mov_b32_e32 v25, 0
	s_mov_b64 s[20:21], s[18:19]
.LBB6_1219:                             ;   Parent Loop BB6_1162 Depth=1
                                        ; =>  This Inner Loop Header: Depth=2
	global_load_ubyte v1, v2, s[20:21]
	s_add_i32 s23, s23, -1
	s_waitcnt vmcnt(0)
	v_and_b32_e32 v1, 0xffff, v1
	v_lshlrev_b64 v[10:11], s6, v[1:2]
	s_add_u32 s6, s6, 8
	s_addc_u32 s7, s7, 0
	s_add_u32 s20, s20, 1
	s_addc_u32 s21, s21, 0
	v_or_b32_e32 v24, v10, v24
	s_cmp_lg_u32 s23, 0
	v_or_b32_e32 v25, v11, v25
	s_cbranch_scc1 .LBB6_1219
	s_branch .LBB6_1222
.LBB6_1220:                             ;   in Loop: Header=BB6_1162 Depth=1
	s_mov_b64 s[6:7], -1
	s_branch .LBB6_1223
.LBB6_1221:                             ;   in Loop: Header=BB6_1162 Depth=1
	v_mov_b32_e32 v24, 0
	v_mov_b32_e32 v25, 0
.LBB6_1222:                             ;   in Loop: Header=BB6_1162 Depth=1
	s_mov_b64 s[6:7], 0
.LBB6_1223:                             ;   in Loop: Header=BB6_1162 Depth=1
	s_andn2_b64 vcc, exec, s[6:7]
	s_cbranch_vccnz .LBB6_1225
; %bb.1224:                             ;   in Loop: Header=BB6_1162 Depth=1
	global_load_dwordx2 v[24:25], v2, s[18:19]
.LBB6_1225:                             ;   in Loop: Header=BB6_1162 Depth=1
	v_readfirstlane_b32 s6, v35
	v_mov_b32_e32 v10, 0
	v_mov_b32_e32 v11, 0
	v_cmp_eq_u32_e64 s[6:7], s6, v35
	s_and_saveexec_b64 s[18:19], s[6:7]
	s_cbranch_execz .LBB6_1231
; %bb.1226:                             ;   in Loop: Header=BB6_1162 Depth=1
	global_load_dwordx2 v[28:29], v2, s[10:11] offset:24 glc
	s_waitcnt vmcnt(0)
	buffer_wbinvl1_vol
	global_load_dwordx2 v[10:11], v2, s[10:11] offset:40
	global_load_dwordx2 v[26:27], v2, s[10:11]
	s_waitcnt vmcnt(1)
	v_and_b32_e32 v1, v10, v28
	v_and_b32_e32 v10, v11, v29
	v_mul_lo_u32 v10, v10, 24
	v_mul_hi_u32 v11, v1, 24
	v_mul_lo_u32 v1, v1, 24
	v_add_u32_e32 v11, v11, v10
	s_waitcnt vmcnt(0)
	v_add_co_u32_e32 v10, vcc, v26, v1
	v_addc_co_u32_e32 v11, vcc, v27, v11, vcc
	global_load_dwordx2 v[26:27], v[10:11], off glc
	s_waitcnt vmcnt(0)
	global_atomic_cmpswap_x2 v[10:11], v2, v[26:29], s[10:11] offset:24 glc
	s_waitcnt vmcnt(0)
	buffer_wbinvl1_vol
	v_cmp_ne_u64_e32 vcc, v[10:11], v[28:29]
	s_and_saveexec_b64 s[20:21], vcc
	s_cbranch_execz .LBB6_1230
; %bb.1227:                             ;   in Loop: Header=BB6_1162 Depth=1
	s_mov_b64 s[22:23], 0
.LBB6_1228:                             ;   Parent Loop BB6_1162 Depth=1
                                        ; =>  This Inner Loop Header: Depth=2
	s_sleep 1
	global_load_dwordx2 v[26:27], v2, s[10:11] offset:40
	global_load_dwordx2 v[31:32], v2, s[10:11]
	v_mov_b32_e32 v29, v11
	v_mov_b32_e32 v28, v10
	s_waitcnt vmcnt(1)
	v_and_b32_e32 v1, v26, v28
	s_waitcnt vmcnt(0)
	v_mad_u64_u32 v[10:11], s[24:25], v1, 24, v[31:32]
	v_and_b32_e32 v26, v27, v29
	v_mov_b32_e32 v1, v11
	v_mad_u64_u32 v[26:27], s[24:25], v26, 24, v[1:2]
	v_mov_b32_e32 v11, v26
	global_load_dwordx2 v[26:27], v[10:11], off glc
	s_waitcnt vmcnt(0)
	global_atomic_cmpswap_x2 v[10:11], v2, v[26:29], s[10:11] offset:24 glc
	s_waitcnt vmcnt(0)
	buffer_wbinvl1_vol
	v_cmp_eq_u64_e32 vcc, v[10:11], v[28:29]
	s_or_b64 s[22:23], vcc, s[22:23]
	s_andn2_b64 exec, exec, s[22:23]
	s_cbranch_execnz .LBB6_1228
; %bb.1229:                             ;   in Loop: Header=BB6_1162 Depth=1
	s_or_b64 exec, exec, s[22:23]
.LBB6_1230:                             ;   in Loop: Header=BB6_1162 Depth=1
	s_or_b64 exec, exec, s[20:21]
.LBB6_1231:                             ;   in Loop: Header=BB6_1162 Depth=1
	s_or_b64 exec, exec, s[18:19]
	v_readfirstlane_b32 s19, v11
	v_readfirstlane_b32 s18, v10
	global_load_dwordx4 v[26:29], v2, s[10:11]
	global_load_dwordx2 v[10:11], v2, s[10:11] offset:40
	s_waitcnt vmcnt(0)
	v_readfirstlane_b32 s20, v10
	v_readfirstlane_b32 s21, v11
	s_and_b64 s[20:21], s[20:21], s[18:19]
	s_mul_i32 s22, s21, 24
	s_mul_hi_u32 s23, s20, 24
	s_add_i32 s22, s23, s22
	s_mul_i32 s23, s20, 24
	v_add_co_u32_e32 v31, vcc, s23, v26
	v_mov_b32_e32 v1, s22
	v_addc_co_u32_e32 v32, vcc, v27, v1, vcc
	s_mov_b64 s[22:23], exec
	s_and_saveexec_b64 s[24:25], s[6:7]
	s_cbranch_execz .LBB6_1233
; %bb.1232:                             ;   in Loop: Header=BB6_1162 Depth=1
	v_mov_b32_e32 v10, s22
	v_mov_b32_e32 v11, s23
	global_store_dwordx4 v[31:32], v[10:13], off offset:8
.LBB6_1233:                             ;   in Loop: Header=BB6_1162 Depth=1
	s_or_b64 exec, exec, s[24:25]
	s_lshl_b64 s[20:21], s[20:21], 12
	v_mov_b32_e32 v1, s21
	v_add_co_u32_e32 v28, vcc, s20, v28
	v_addc_co_u32_e32 v29, vcc, v29, v1, vcc
	v_cmp_lt_u64_e64 vcc, s[14:15], 57
	s_lshl_b32 s20, s16, 2
	v_cndmask_b32_e32 v1, 0, v37, vcc
	s_add_i32 s20, s20, 28
	v_and_b32_e32 v6, 0xffffff1f, v6
	s_and_b32 s20, s20, 0x1e0
	v_or_b32_e32 v1, v6, v1
	v_or_b32_e32 v6, s20, v1
	v_readfirstlane_b32 s20, v28
	v_readfirstlane_b32 s21, v29
	s_nop 4
	global_store_dwordx4 v34, v[6:9], s[20:21]
	global_store_dwordx4 v34, v[14:17], s[20:21] offset:16
	global_store_dwordx4 v34, v[18:21], s[20:21] offset:32
	;; [unrolled: 1-line block ×3, first 2 shown]
	s_and_saveexec_b64 s[20:21], s[6:7]
	s_cbranch_execz .LBB6_1241
; %bb.1234:                             ;   in Loop: Header=BB6_1162 Depth=1
	global_load_dwordx2 v[16:17], v2, s[10:11] offset:32 glc
	global_load_dwordx2 v[6:7], v2, s[10:11] offset:40
	v_mov_b32_e32 v14, s18
	v_mov_b32_e32 v15, s19
	s_waitcnt vmcnt(0)
	v_readfirstlane_b32 s22, v6
	v_readfirstlane_b32 s23, v7
	s_and_b64 s[22:23], s[22:23], s[18:19]
	s_mul_i32 s23, s23, 24
	s_mul_hi_u32 s24, s22, 24
	s_mul_i32 s22, s22, 24
	s_add_i32 s23, s24, s23
	v_mov_b32_e32 v1, s23
	v_add_co_u32_e32 v10, vcc, s22, v26
	v_addc_co_u32_e32 v11, vcc, v27, v1, vcc
	global_store_dwordx2 v[10:11], v[16:17], off
	s_waitcnt vmcnt(0)
	global_atomic_cmpswap_x2 v[8:9], v2, v[14:17], s[10:11] offset:32 glc
	s_waitcnt vmcnt(0)
	v_cmp_ne_u64_e32 vcc, v[8:9], v[16:17]
	s_and_saveexec_b64 s[22:23], vcc
	s_cbranch_execz .LBB6_1237
; %bb.1235:                             ;   in Loop: Header=BB6_1162 Depth=1
	s_mov_b64 s[24:25], 0
.LBB6_1236:                             ;   Parent Loop BB6_1162 Depth=1
                                        ; =>  This Inner Loop Header: Depth=2
	s_sleep 1
	global_store_dwordx2 v[10:11], v[8:9], off
	v_mov_b32_e32 v6, s18
	v_mov_b32_e32 v7, s19
	s_waitcnt vmcnt(0)
	global_atomic_cmpswap_x2 v[6:7], v2, v[6:9], s[10:11] offset:32 glc
	s_waitcnt vmcnt(0)
	v_cmp_eq_u64_e32 vcc, v[6:7], v[8:9]
	v_mov_b32_e32 v9, v7
	s_or_b64 s[24:25], vcc, s[24:25]
	v_mov_b32_e32 v8, v6
	s_andn2_b64 exec, exec, s[24:25]
	s_cbranch_execnz .LBB6_1236
.LBB6_1237:                             ;   in Loop: Header=BB6_1162 Depth=1
	s_or_b64 exec, exec, s[22:23]
	global_load_dwordx2 v[6:7], v2, s[10:11] offset:16
	s_mov_b64 s[24:25], exec
	v_mbcnt_lo_u32_b32 v1, s24, 0
	v_mbcnt_hi_u32_b32 v1, s25, v1
	v_cmp_eq_u32_e32 vcc, 0, v1
	s_and_saveexec_b64 s[22:23], vcc
	s_cbranch_execz .LBB6_1239
; %bb.1238:                             ;   in Loop: Header=BB6_1162 Depth=1
	s_bcnt1_i32_b64 s24, s[24:25]
	v_mov_b32_e32 v1, s24
	s_waitcnt vmcnt(0)
	global_atomic_add_x2 v[6:7], v[1:2], off offset:8
.LBB6_1239:                             ;   in Loop: Header=BB6_1162 Depth=1
	s_or_b64 exec, exec, s[22:23]
	s_waitcnt vmcnt(0)
	global_load_dwordx2 v[8:9], v[6:7], off offset:16
	s_waitcnt vmcnt(0)
	v_cmp_eq_u64_e32 vcc, 0, v[8:9]
	s_cbranch_vccnz .LBB6_1241
; %bb.1240:                             ;   in Loop: Header=BB6_1162 Depth=1
	global_load_dword v1, v[6:7], off offset:24
	s_waitcnt vmcnt(0)
	v_readfirstlane_b32 s22, v1
	s_and_b32 m0, s22, 0xffffff
	global_store_dwordx2 v[8:9], v[1:2], off
	s_sendmsg sendmsg(MSG_INTERRUPT)
.LBB6_1241:                             ;   in Loop: Header=BB6_1162 Depth=1
	s_or_b64 exec, exec, s[20:21]
	v_add_co_u32_e32 v6, vcc, v28, v34
	v_addc_co_u32_e32 v7, vcc, 0, v29, vcc
	s_branch .LBB6_1245
.LBB6_1242:                             ;   in Loop: Header=BB6_1245 Depth=2
	s_or_b64 exec, exec, s[20:21]
	v_readfirstlane_b32 s20, v1
	s_cmp_eq_u32 s20, 0
	s_cbranch_scc1 .LBB6_1244
; %bb.1243:                             ;   in Loop: Header=BB6_1245 Depth=2
	s_sleep 1
	s_cbranch_execnz .LBB6_1245
	s_branch .LBB6_1247
.LBB6_1244:                             ;   in Loop: Header=BB6_1162 Depth=1
	s_branch .LBB6_1247
.LBB6_1245:                             ;   Parent Loop BB6_1162 Depth=1
                                        ; =>  This Inner Loop Header: Depth=2
	v_mov_b32_e32 v1, 1
	s_and_saveexec_b64 s[20:21], s[6:7]
	s_cbranch_execz .LBB6_1242
; %bb.1246:                             ;   in Loop: Header=BB6_1245 Depth=2
	global_load_dword v1, v[31:32], off offset:20 glc
	s_waitcnt vmcnt(0)
	buffer_wbinvl1_vol
	v_and_b32_e32 v1, 1, v1
	s_branch .LBB6_1242
.LBB6_1247:                             ;   in Loop: Header=BB6_1162 Depth=1
	global_load_dwordx2 v[6:7], v[6:7], off
	s_and_saveexec_b64 s[20:21], s[6:7]
	s_cbranch_execz .LBB6_1161
; %bb.1248:                             ;   in Loop: Header=BB6_1162 Depth=1
	global_load_dwordx2 v[8:9], v2, s[10:11] offset:40
	global_load_dwordx2 v[18:19], v2, s[10:11] offset:24 glc
	global_load_dwordx2 v[10:11], v2, s[10:11]
	s_waitcnt vmcnt(2)
	v_readfirstlane_b32 s22, v8
	v_readfirstlane_b32 s23, v9
	s_add_u32 s24, s22, 1
	s_addc_u32 s25, s23, 0
	s_add_u32 s6, s24, s18
	s_addc_u32 s7, s25, s19
	s_cmp_eq_u64 s[6:7], 0
	s_cselect_b32 s7, s25, s7
	s_cselect_b32 s6, s24, s6
	s_and_b64 s[18:19], s[6:7], s[22:23]
	s_mul_i32 s19, s19, 24
	s_mul_hi_u32 s22, s18, 24
	s_mul_i32 s18, s18, 24
	s_add_i32 s19, s22, s19
	v_mov_b32_e32 v1, s19
	s_waitcnt vmcnt(0)
	v_add_co_u32_e32 v14, vcc, s18, v10
	v_addc_co_u32_e32 v15, vcc, v11, v1, vcc
	v_mov_b32_e32 v16, s6
	global_store_dwordx2 v[14:15], v[18:19], off
	v_mov_b32_e32 v17, s7
	s_waitcnt vmcnt(0)
	global_atomic_cmpswap_x2 v[10:11], v2, v[16:19], s[10:11] offset:24 glc
	s_waitcnt vmcnt(0)
	v_cmp_ne_u64_e32 vcc, v[10:11], v[18:19]
	s_and_b64 exec, exec, vcc
	s_cbranch_execz .LBB6_1161
; %bb.1249:                             ;   in Loop: Header=BB6_1162 Depth=1
	s_mov_b64 s[18:19], 0
.LBB6_1250:                             ;   Parent Loop BB6_1162 Depth=1
                                        ; =>  This Inner Loop Header: Depth=2
	s_sleep 1
	global_store_dwordx2 v[14:15], v[10:11], off
	v_mov_b32_e32 v8, s6
	v_mov_b32_e32 v9, s7
	s_waitcnt vmcnt(0)
	global_atomic_cmpswap_x2 v[8:9], v2, v[8:11], s[10:11] offset:24 glc
	s_waitcnt vmcnt(0)
	v_cmp_eq_u64_e32 vcc, v[8:9], v[10:11]
	v_mov_b32_e32 v11, v9
	s_or_b64 s[18:19], vcc, s[18:19]
	v_mov_b32_e32 v10, v8
	s_andn2_b64 exec, exec, s[18:19]
	s_cbranch_execnz .LBB6_1250
	s_branch .LBB6_1161
.LBB6_1251:
	s_mov_b64 s[6:7], 0
	s_branch .LBB6_1253
.LBB6_1252:
	s_mov_b64 s[6:7], -1
                                        ; implicit-def: $vgpr6_vgpr7
.LBB6_1253:
	s_and_b64 vcc, exec, s[6:7]
	s_cbranch_vccz .LBB6_1280
; %bb.1254:
	v_readfirstlane_b32 s6, v35
	v_mov_b32_e32 v1, 0
	v_mov_b32_e32 v2, 0
	v_cmp_eq_u32_e64 s[6:7], s6, v35
	s_and_saveexec_b64 s[12:13], s[6:7]
	s_cbranch_execz .LBB6_1260
; %bb.1255:
	s_waitcnt vmcnt(0)
	v_mov_b32_e32 v6, 0
	global_load_dwordx2 v[9:10], v6, s[10:11] offset:24 glc
	s_waitcnt vmcnt(0)
	buffer_wbinvl1_vol
	global_load_dwordx2 v[1:2], v6, s[10:11] offset:40
	global_load_dwordx2 v[7:8], v6, s[10:11]
	s_waitcnt vmcnt(1)
	v_and_b32_e32 v1, v1, v9
	v_and_b32_e32 v2, v2, v10
	v_mul_lo_u32 v2, v2, 24
	v_mul_hi_u32 v11, v1, 24
	v_mul_lo_u32 v1, v1, 24
	v_add_u32_e32 v2, v11, v2
	s_waitcnt vmcnt(0)
	v_add_co_u32_e32 v1, vcc, v7, v1
	v_addc_co_u32_e32 v2, vcc, v8, v2, vcc
	global_load_dwordx2 v[7:8], v[1:2], off glc
	s_waitcnt vmcnt(0)
	global_atomic_cmpswap_x2 v[1:2], v6, v[7:10], s[10:11] offset:24 glc
	s_waitcnt vmcnt(0)
	buffer_wbinvl1_vol
	v_cmp_ne_u64_e32 vcc, v[1:2], v[9:10]
	s_and_saveexec_b64 s[14:15], vcc
	s_cbranch_execz .LBB6_1259
; %bb.1256:
	s_mov_b64 s[16:17], 0
.LBB6_1257:                             ; =>This Inner Loop Header: Depth=1
	s_sleep 1
	global_load_dwordx2 v[7:8], v6, s[10:11] offset:40
	global_load_dwordx2 v[11:12], v6, s[10:11]
	v_mov_b32_e32 v10, v2
	v_mov_b32_e32 v9, v1
	s_waitcnt vmcnt(1)
	v_and_b32_e32 v1, v7, v9
	s_waitcnt vmcnt(0)
	v_mad_u64_u32 v[1:2], s[18:19], v1, 24, v[11:12]
	v_and_b32_e32 v7, v8, v10
	v_mad_u64_u32 v[7:8], s[18:19], v7, 24, v[2:3]
	v_mov_b32_e32 v2, v7
	global_load_dwordx2 v[7:8], v[1:2], off glc
	s_waitcnt vmcnt(0)
	global_atomic_cmpswap_x2 v[1:2], v6, v[7:10], s[10:11] offset:24 glc
	s_waitcnt vmcnt(0)
	buffer_wbinvl1_vol
	v_cmp_eq_u64_e32 vcc, v[1:2], v[9:10]
	s_or_b64 s[16:17], vcc, s[16:17]
	s_andn2_b64 exec, exec, s[16:17]
	s_cbranch_execnz .LBB6_1257
; %bb.1258:
	s_or_b64 exec, exec, s[16:17]
.LBB6_1259:
	s_or_b64 exec, exec, s[14:15]
.LBB6_1260:
	s_or_b64 exec, exec, s[12:13]
	s_waitcnt vmcnt(0)
	v_mov_b32_e32 v6, 0
	global_load_dwordx2 v[12:13], v6, s[10:11] offset:40
	global_load_dwordx4 v[8:11], v6, s[10:11]
	v_readfirstlane_b32 s13, v2
	v_readfirstlane_b32 s12, v1
	s_mov_b64 s[14:15], exec
	s_waitcnt vmcnt(1)
	v_readfirstlane_b32 s16, v12
	v_readfirstlane_b32 s17, v13
	s_and_b64 s[16:17], s[16:17], s[12:13]
	s_mul_i32 s18, s17, 24
	s_mul_hi_u32 s19, s16, 24
	s_mul_i32 s20, s16, 24
	s_add_i32 s18, s19, s18
	v_mov_b32_e32 v2, s18
	s_waitcnt vmcnt(0)
	v_add_co_u32_e32 v1, vcc, s20, v8
	v_addc_co_u32_e32 v2, vcc, v9, v2, vcc
	s_and_saveexec_b64 s[18:19], s[6:7]
	s_cbranch_execz .LBB6_1262
; %bb.1261:
	v_mov_b32_e32 v12, s14
	v_mov_b32_e32 v13, s15
	;; [unrolled: 1-line block ×4, first 2 shown]
	global_store_dwordx4 v[1:2], v[12:15], off offset:8
.LBB6_1262:
	s_or_b64 exec, exec, s[18:19]
	s_lshl_b64 s[14:15], s[16:17], 12
	v_mov_b32_e32 v7, s15
	v_add_co_u32_e32 v12, vcc, s14, v10
	v_addc_co_u32_e32 v13, vcc, v11, v7, vcc
	s_movk_i32 s14, 0xff1f
	v_and_or_b32 v4, v4, s14, 32
	s_mov_b32 s16, 0
	v_mov_b32_e32 v7, v6
	v_readfirstlane_b32 s14, v12
	v_readfirstlane_b32 s15, v13
	v_add_co_u32_e32 v10, vcc, v12, v34
	s_mov_b32 s17, s16
	s_mov_b32 s18, s16
	;; [unrolled: 1-line block ×3, first 2 shown]
	s_nop 0
	global_store_dwordx4 v34, v[4:7], s[14:15]
	v_addc_co_u32_e32 v11, vcc, 0, v13, vcc
	v_mov_b32_e32 v4, s16
	v_mov_b32_e32 v5, s17
	;; [unrolled: 1-line block ×4, first 2 shown]
	global_store_dwordx4 v34, v[4:7], s[14:15] offset:16
	global_store_dwordx4 v34, v[4:7], s[14:15] offset:32
	;; [unrolled: 1-line block ×3, first 2 shown]
	s_and_saveexec_b64 s[14:15], s[6:7]
	s_cbranch_execz .LBB6_1270
; %bb.1263:
	v_mov_b32_e32 v12, 0
	global_load_dwordx2 v[15:16], v12, s[10:11] offset:32 glc
	global_load_dwordx2 v[4:5], v12, s[10:11] offset:40
	v_mov_b32_e32 v13, s12
	v_mov_b32_e32 v14, s13
	s_waitcnt vmcnt(0)
	v_readfirstlane_b32 s16, v4
	v_readfirstlane_b32 s17, v5
	s_and_b64 s[16:17], s[16:17], s[12:13]
	s_mul_i32 s17, s17, 24
	s_mul_hi_u32 s18, s16, 24
	s_mul_i32 s16, s16, 24
	s_add_i32 s17, s18, s17
	v_mov_b32_e32 v4, s17
	v_add_co_u32_e32 v8, vcc, s16, v8
	v_addc_co_u32_e32 v9, vcc, v9, v4, vcc
	global_store_dwordx2 v[8:9], v[15:16], off
	s_waitcnt vmcnt(0)
	global_atomic_cmpswap_x2 v[6:7], v12, v[13:16], s[10:11] offset:32 glc
	s_waitcnt vmcnt(0)
	v_cmp_ne_u64_e32 vcc, v[6:7], v[15:16]
	s_and_saveexec_b64 s[16:17], vcc
	s_cbranch_execz .LBB6_1266
; %bb.1264:
	s_mov_b64 s[18:19], 0
.LBB6_1265:                             ; =>This Inner Loop Header: Depth=1
	s_sleep 1
	global_store_dwordx2 v[8:9], v[6:7], off
	v_mov_b32_e32 v4, s12
	v_mov_b32_e32 v5, s13
	s_waitcnt vmcnt(0)
	global_atomic_cmpswap_x2 v[4:5], v12, v[4:7], s[10:11] offset:32 glc
	s_waitcnt vmcnt(0)
	v_cmp_eq_u64_e32 vcc, v[4:5], v[6:7]
	v_mov_b32_e32 v7, v5
	s_or_b64 s[18:19], vcc, s[18:19]
	v_mov_b32_e32 v6, v4
	s_andn2_b64 exec, exec, s[18:19]
	s_cbranch_execnz .LBB6_1265
.LBB6_1266:
	s_or_b64 exec, exec, s[16:17]
	v_mov_b32_e32 v7, 0
	global_load_dwordx2 v[4:5], v7, s[10:11] offset:16
	s_mov_b64 s[16:17], exec
	v_mbcnt_lo_u32_b32 v6, s16, 0
	v_mbcnt_hi_u32_b32 v6, s17, v6
	v_cmp_eq_u32_e32 vcc, 0, v6
	s_and_saveexec_b64 s[18:19], vcc
	s_cbranch_execz .LBB6_1268
; %bb.1267:
	s_bcnt1_i32_b64 s16, s[16:17]
	v_mov_b32_e32 v6, s16
	s_waitcnt vmcnt(0)
	global_atomic_add_x2 v[4:5], v[6:7], off offset:8
.LBB6_1268:
	s_or_b64 exec, exec, s[18:19]
	s_waitcnt vmcnt(0)
	global_load_dwordx2 v[6:7], v[4:5], off offset:16
	s_waitcnt vmcnt(0)
	v_cmp_eq_u64_e32 vcc, 0, v[6:7]
	s_cbranch_vccnz .LBB6_1270
; %bb.1269:
	global_load_dword v4, v[4:5], off offset:24
	v_mov_b32_e32 v5, 0
	s_waitcnt vmcnt(0)
	v_readfirstlane_b32 s16, v4
	s_and_b32 m0, s16, 0xffffff
	global_store_dwordx2 v[6:7], v[4:5], off
	s_sendmsg sendmsg(MSG_INTERRUPT)
.LBB6_1270:
	s_or_b64 exec, exec, s[14:15]
	s_branch .LBB6_1274
.LBB6_1271:                             ;   in Loop: Header=BB6_1274 Depth=1
	s_or_b64 exec, exec, s[14:15]
	v_readfirstlane_b32 s14, v4
	s_cmp_eq_u32 s14, 0
	s_cbranch_scc1 .LBB6_1273
; %bb.1272:                             ;   in Loop: Header=BB6_1274 Depth=1
	s_sleep 1
	s_cbranch_execnz .LBB6_1274
	s_branch .LBB6_1276
.LBB6_1273:
	s_branch .LBB6_1276
.LBB6_1274:                             ; =>This Inner Loop Header: Depth=1
	v_mov_b32_e32 v4, 1
	s_and_saveexec_b64 s[14:15], s[6:7]
	s_cbranch_execz .LBB6_1271
; %bb.1275:                             ;   in Loop: Header=BB6_1274 Depth=1
	global_load_dword v4, v[1:2], off offset:20 glc
	s_waitcnt vmcnt(0)
	buffer_wbinvl1_vol
	v_and_b32_e32 v4, 1, v4
	s_branch .LBB6_1271
.LBB6_1276:
	global_load_dwordx2 v[6:7], v[10:11], off
	s_and_saveexec_b64 s[14:15], s[6:7]
	s_cbranch_execz .LBB6_1279
; %bb.1277:
	v_mov_b32_e32 v4, 0
	global_load_dwordx2 v[1:2], v4, s[10:11] offset:40
	global_load_dwordx2 v[12:13], v4, s[10:11] offset:24 glc
	global_load_dwordx2 v[8:9], v4, s[10:11]
	s_waitcnt vmcnt(2)
	v_readfirstlane_b32 s16, v1
	v_readfirstlane_b32 s17, v2
	s_add_u32 s18, s16, 1
	s_addc_u32 s19, s17, 0
	s_add_u32 s6, s18, s12
	s_addc_u32 s7, s19, s13
	s_cmp_eq_u64 s[6:7], 0
	s_cselect_b32 s7, s19, s7
	s_cselect_b32 s6, s18, s6
	s_and_b64 s[12:13], s[6:7], s[16:17]
	s_mul_i32 s13, s13, 24
	s_mul_hi_u32 s16, s12, 24
	s_mul_i32 s12, s12, 24
	s_add_i32 s13, s16, s13
	v_mov_b32_e32 v2, s13
	s_waitcnt vmcnt(0)
	v_add_co_u32_e32 v1, vcc, s12, v8
	v_addc_co_u32_e32 v2, vcc, v9, v2, vcc
	v_mov_b32_e32 v10, s6
	global_store_dwordx2 v[1:2], v[12:13], off
	v_mov_b32_e32 v11, s7
	s_waitcnt vmcnt(0)
	global_atomic_cmpswap_x2 v[10:11], v4, v[10:13], s[10:11] offset:24 glc
	s_mov_b64 s[12:13], 0
	s_waitcnt vmcnt(0)
	v_cmp_ne_u64_e32 vcc, v[10:11], v[12:13]
	s_and_b64 exec, exec, vcc
	s_cbranch_execz .LBB6_1279
.LBB6_1278:                             ; =>This Inner Loop Header: Depth=1
	s_sleep 1
	global_store_dwordx2 v[1:2], v[10:11], off
	v_mov_b32_e32 v8, s6
	v_mov_b32_e32 v9, s7
	s_waitcnt vmcnt(0)
	global_atomic_cmpswap_x2 v[8:9], v4, v[8:11], s[10:11] offset:24 glc
	s_waitcnt vmcnt(0)
	v_cmp_eq_u64_e32 vcc, v[8:9], v[10:11]
	v_mov_b32_e32 v11, v9
	s_or_b64 s[12:13], vcc, s[12:13]
	v_mov_b32_e32 v10, v8
	s_andn2_b64 exec, exec, s[12:13]
	s_cbranch_execnz .LBB6_1278
.LBB6_1279:
	s_or_b64 exec, exec, s[14:15]
.LBB6_1280:
	v_readfirstlane_b32 s6, v35
	v_mov_b32_e32 v1, 0
	v_mov_b32_e32 v2, 0
	v_cmp_eq_u32_e64 s[6:7], s6, v35
	s_and_saveexec_b64 s[12:13], s[6:7]
	s_cbranch_execz .LBB6_1286
; %bb.1281:
	s_waitcnt vmcnt(0)
	v_mov_b32_e32 v4, 0
	global_load_dwordx2 v[10:11], v4, s[10:11] offset:24 glc
	s_waitcnt vmcnt(0)
	buffer_wbinvl1_vol
	global_load_dwordx2 v[1:2], v4, s[10:11] offset:40
	global_load_dwordx2 v[8:9], v4, s[10:11]
	s_waitcnt vmcnt(1)
	v_and_b32_e32 v1, v1, v10
	v_and_b32_e32 v2, v2, v11
	v_mul_lo_u32 v2, v2, 24
	v_mul_hi_u32 v5, v1, 24
	v_mul_lo_u32 v1, v1, 24
	v_add_u32_e32 v2, v5, v2
	s_waitcnt vmcnt(0)
	v_add_co_u32_e32 v1, vcc, v8, v1
	v_addc_co_u32_e32 v2, vcc, v9, v2, vcc
	global_load_dwordx2 v[8:9], v[1:2], off glc
	s_waitcnt vmcnt(0)
	global_atomic_cmpswap_x2 v[1:2], v4, v[8:11], s[10:11] offset:24 glc
	s_waitcnt vmcnt(0)
	buffer_wbinvl1_vol
	v_cmp_ne_u64_e32 vcc, v[1:2], v[10:11]
	s_and_saveexec_b64 s[14:15], vcc
	s_cbranch_execz .LBB6_1285
; %bb.1282:
	s_mov_b64 s[16:17], 0
.LBB6_1283:                             ; =>This Inner Loop Header: Depth=1
	s_sleep 1
	global_load_dwordx2 v[8:9], v4, s[10:11] offset:40
	global_load_dwordx2 v[12:13], v4, s[10:11]
	v_mov_b32_e32 v11, v2
	v_mov_b32_e32 v10, v1
	s_waitcnt vmcnt(1)
	v_and_b32_e32 v1, v8, v10
	s_waitcnt vmcnt(0)
	v_mad_u64_u32 v[1:2], s[18:19], v1, 24, v[12:13]
	v_and_b32_e32 v5, v9, v11
	v_mad_u64_u32 v[8:9], s[18:19], v5, 24, v[2:3]
	v_mov_b32_e32 v2, v8
	global_load_dwordx2 v[8:9], v[1:2], off glc
	s_waitcnt vmcnt(0)
	global_atomic_cmpswap_x2 v[1:2], v4, v[8:11], s[10:11] offset:24 glc
	s_waitcnt vmcnt(0)
	buffer_wbinvl1_vol
	v_cmp_eq_u64_e32 vcc, v[1:2], v[10:11]
	s_or_b64 s[16:17], vcc, s[16:17]
	s_andn2_b64 exec, exec, s[16:17]
	s_cbranch_execnz .LBB6_1283
; %bb.1284:
	s_or_b64 exec, exec, s[16:17]
.LBB6_1285:
	s_or_b64 exec, exec, s[14:15]
.LBB6_1286:
	s_or_b64 exec, exec, s[12:13]
	v_mov_b32_e32 v9, 0
	global_load_dwordx2 v[4:5], v9, s[10:11] offset:40
	global_load_dwordx4 v[10:13], v9, s[10:11]
	v_readfirstlane_b32 s13, v2
	v_readfirstlane_b32 s12, v1
	s_mov_b64 s[14:15], exec
	s_waitcnt vmcnt(1)
	v_readfirstlane_b32 s16, v4
	v_readfirstlane_b32 s17, v5
	s_and_b64 s[16:17], s[16:17], s[12:13]
	s_mul_i32 s18, s17, 24
	s_mul_hi_u32 s19, s16, 24
	s_mul_i32 s20, s16, 24
	s_add_i32 s18, s19, s18
	v_mov_b32_e32 v2, s18
	s_waitcnt vmcnt(0)
	v_add_co_u32_e32 v1, vcc, s20, v10
	v_addc_co_u32_e32 v2, vcc, v11, v2, vcc
	s_and_saveexec_b64 s[18:19], s[6:7]
	s_cbranch_execz .LBB6_1288
; %bb.1287:
	v_mov_b32_e32 v14, s14
	v_mov_b32_e32 v15, s15
	;; [unrolled: 1-line block ×4, first 2 shown]
	global_store_dwordx4 v[1:2], v[14:17], off offset:8
.LBB6_1288:
	s_or_b64 exec, exec, s[18:19]
	s_lshl_b64 s[14:15], s[16:17], 12
	v_mov_b32_e32 v4, s15
	v_add_co_u32_e32 v5, vcc, s14, v12
	v_addc_co_u32_e32 v4, vcc, v13, v4, vcc
	s_movk_i32 s14, 0xff1f
	v_and_or_b32 v6, v6, s14, 32
	v_add_co_u32_e32 v12, vcc, v5, v34
	v_mov_b32_e32 v8, v36
	v_readfirstlane_b32 s14, v5
	v_readfirstlane_b32 s15, v4
	s_mov_b32 s16, 0
	v_addc_co_u32_e32 v13, vcc, 0, v4, vcc
	s_mov_b32 s17, s16
	s_mov_b32 s18, s16
	s_nop 0
	global_store_dwordx4 v34, v[6:9], s[14:15]
	s_mov_b32 s19, s16
	v_mov_b32_e32 v4, s16
	v_mov_b32_e32 v5, s17
	v_mov_b32_e32 v6, s18
	v_mov_b32_e32 v7, s19
	global_store_dwordx4 v34, v[4:7], s[14:15] offset:16
	global_store_dwordx4 v34, v[4:7], s[14:15] offset:32
	global_store_dwordx4 v34, v[4:7], s[14:15] offset:48
	s_and_saveexec_b64 s[14:15], s[6:7]
	s_cbranch_execz .LBB6_1296
; %bb.1289:
	v_mov_b32_e32 v14, 0
	global_load_dwordx2 v[17:18], v14, s[10:11] offset:32 glc
	global_load_dwordx2 v[4:5], v14, s[10:11] offset:40
	v_mov_b32_e32 v15, s12
	v_mov_b32_e32 v16, s13
	s_waitcnt vmcnt(0)
	v_readfirstlane_b32 s16, v4
	v_readfirstlane_b32 s17, v5
	s_and_b64 s[16:17], s[16:17], s[12:13]
	s_mul_i32 s17, s17, 24
	s_mul_hi_u32 s18, s16, 24
	s_mul_i32 s16, s16, 24
	s_add_i32 s17, s18, s17
	v_mov_b32_e32 v4, s17
	v_add_co_u32_e32 v8, vcc, s16, v10
	v_addc_co_u32_e32 v9, vcc, v11, v4, vcc
	global_store_dwordx2 v[8:9], v[17:18], off
	s_waitcnt vmcnt(0)
	global_atomic_cmpswap_x2 v[6:7], v14, v[15:18], s[10:11] offset:32 glc
	s_waitcnt vmcnt(0)
	v_cmp_ne_u64_e32 vcc, v[6:7], v[17:18]
	s_and_saveexec_b64 s[16:17], vcc
	s_cbranch_execz .LBB6_1292
; %bb.1290:
	s_mov_b64 s[18:19], 0
.LBB6_1291:                             ; =>This Inner Loop Header: Depth=1
	s_sleep 1
	global_store_dwordx2 v[8:9], v[6:7], off
	v_mov_b32_e32 v4, s12
	v_mov_b32_e32 v5, s13
	s_waitcnt vmcnt(0)
	global_atomic_cmpswap_x2 v[4:5], v14, v[4:7], s[10:11] offset:32 glc
	s_waitcnt vmcnt(0)
	v_cmp_eq_u64_e32 vcc, v[4:5], v[6:7]
	v_mov_b32_e32 v7, v5
	s_or_b64 s[18:19], vcc, s[18:19]
	v_mov_b32_e32 v6, v4
	s_andn2_b64 exec, exec, s[18:19]
	s_cbranch_execnz .LBB6_1291
.LBB6_1292:
	s_or_b64 exec, exec, s[16:17]
	v_mov_b32_e32 v7, 0
	global_load_dwordx2 v[4:5], v7, s[10:11] offset:16
	s_mov_b64 s[16:17], exec
	v_mbcnt_lo_u32_b32 v6, s16, 0
	v_mbcnt_hi_u32_b32 v6, s17, v6
	v_cmp_eq_u32_e32 vcc, 0, v6
	s_and_saveexec_b64 s[18:19], vcc
	s_cbranch_execz .LBB6_1294
; %bb.1293:
	s_bcnt1_i32_b64 s16, s[16:17]
	v_mov_b32_e32 v6, s16
	s_waitcnt vmcnt(0)
	global_atomic_add_x2 v[4:5], v[6:7], off offset:8
.LBB6_1294:
	s_or_b64 exec, exec, s[18:19]
	s_waitcnt vmcnt(0)
	global_load_dwordx2 v[6:7], v[4:5], off offset:16
	s_waitcnt vmcnt(0)
	v_cmp_eq_u64_e32 vcc, 0, v[6:7]
	s_cbranch_vccnz .LBB6_1296
; %bb.1295:
	global_load_dword v4, v[4:5], off offset:24
	v_mov_b32_e32 v5, 0
	s_waitcnt vmcnt(0)
	v_readfirstlane_b32 s16, v4
	s_and_b32 m0, s16, 0xffffff
	global_store_dwordx2 v[6:7], v[4:5], off
	s_sendmsg sendmsg(MSG_INTERRUPT)
.LBB6_1296:
	s_or_b64 exec, exec, s[14:15]
	s_branch .LBB6_1300
.LBB6_1297:                             ;   in Loop: Header=BB6_1300 Depth=1
	s_or_b64 exec, exec, s[14:15]
	v_readfirstlane_b32 s14, v4
	s_cmp_eq_u32 s14, 0
	s_cbranch_scc1 .LBB6_1299
; %bb.1298:                             ;   in Loop: Header=BB6_1300 Depth=1
	s_sleep 1
	s_cbranch_execnz .LBB6_1300
	s_branch .LBB6_1302
.LBB6_1299:
	s_branch .LBB6_1302
.LBB6_1300:                             ; =>This Inner Loop Header: Depth=1
	v_mov_b32_e32 v4, 1
	s_and_saveexec_b64 s[14:15], s[6:7]
	s_cbranch_execz .LBB6_1297
; %bb.1301:                             ;   in Loop: Header=BB6_1300 Depth=1
	global_load_dword v4, v[1:2], off offset:20 glc
	s_waitcnt vmcnt(0)
	buffer_wbinvl1_vol
	v_and_b32_e32 v4, 1, v4
	s_branch .LBB6_1297
.LBB6_1302:
	global_load_dwordx2 v[1:2], v[12:13], off
	s_and_saveexec_b64 s[14:15], s[6:7]
	s_cbranch_execz .LBB6_1305
; %bb.1303:
	v_mov_b32_e32 v10, 0
	global_load_dwordx2 v[4:5], v10, s[10:11] offset:40
	global_load_dwordx2 v[13:14], v10, s[10:11] offset:24 glc
	global_load_dwordx2 v[6:7], v10, s[10:11]
	s_waitcnt vmcnt(2)
	v_readfirstlane_b32 s16, v4
	v_readfirstlane_b32 s17, v5
	s_add_u32 s18, s16, 1
	s_addc_u32 s19, s17, 0
	s_add_u32 s6, s18, s12
	s_addc_u32 s7, s19, s13
	s_cmp_eq_u64 s[6:7], 0
	s_cselect_b32 s7, s19, s7
	s_cselect_b32 s6, s18, s6
	s_and_b64 s[12:13], s[6:7], s[16:17]
	s_mul_i32 s13, s13, 24
	s_mul_hi_u32 s16, s12, 24
	s_mul_i32 s12, s12, 24
	s_add_i32 s13, s16, s13
	v_mov_b32_e32 v4, s13
	s_waitcnt vmcnt(0)
	v_add_co_u32_e32 v8, vcc, s12, v6
	v_addc_co_u32_e32 v9, vcc, v7, v4, vcc
	v_mov_b32_e32 v11, s6
	global_store_dwordx2 v[8:9], v[13:14], off
	v_mov_b32_e32 v12, s7
	s_waitcnt vmcnt(0)
	global_atomic_cmpswap_x2 v[6:7], v10, v[11:14], s[10:11] offset:24 glc
	s_mov_b64 s[12:13], 0
	s_waitcnt vmcnt(0)
	v_cmp_ne_u64_e32 vcc, v[6:7], v[13:14]
	s_and_b64 exec, exec, vcc
	s_cbranch_execz .LBB6_1305
.LBB6_1304:                             ; =>This Inner Loop Header: Depth=1
	s_sleep 1
	global_store_dwordx2 v[8:9], v[6:7], off
	v_mov_b32_e32 v4, s6
	v_mov_b32_e32 v5, s7
	s_waitcnt vmcnt(0)
	global_atomic_cmpswap_x2 v[4:5], v10, v[4:7], s[10:11] offset:24 glc
	s_waitcnt vmcnt(0)
	v_cmp_eq_u64_e32 vcc, v[4:5], v[6:7]
	v_mov_b32_e32 v7, v5
	s_or_b64 s[12:13], vcc, s[12:13]
	v_mov_b32_e32 v6, v4
	s_andn2_b64 exec, exec, s[12:13]
	s_cbranch_execnz .LBB6_1304
.LBB6_1305:
	s_or_b64 exec, exec, s[14:15]
	v_readfirstlane_b32 s6, v35
	v_mov_b32_e32 v9, 0
	v_mov_b32_e32 v10, 0
	v_cmp_eq_u32_e64 s[6:7], s6, v35
	s_and_saveexec_b64 s[12:13], s[6:7]
	s_cbranch_execz .LBB6_1311
; %bb.1306:
	v_mov_b32_e32 v4, 0
	global_load_dwordx2 v[7:8], v4, s[10:11] offset:24 glc
	s_waitcnt vmcnt(0)
	buffer_wbinvl1_vol
	global_load_dwordx2 v[5:6], v4, s[10:11] offset:40
	global_load_dwordx2 v[9:10], v4, s[10:11]
	s_waitcnt vmcnt(1)
	v_and_b32_e32 v5, v5, v7
	v_and_b32_e32 v6, v6, v8
	v_mul_lo_u32 v6, v6, 24
	v_mul_hi_u32 v11, v5, 24
	v_mul_lo_u32 v5, v5, 24
	v_add_u32_e32 v6, v11, v6
	s_waitcnt vmcnt(0)
	v_add_co_u32_e32 v5, vcc, v9, v5
	v_addc_co_u32_e32 v6, vcc, v10, v6, vcc
	global_load_dwordx2 v[5:6], v[5:6], off glc
	s_waitcnt vmcnt(0)
	global_atomic_cmpswap_x2 v[9:10], v4, v[5:8], s[10:11] offset:24 glc
	s_waitcnt vmcnt(0)
	buffer_wbinvl1_vol
	v_cmp_ne_u64_e32 vcc, v[9:10], v[7:8]
	s_and_saveexec_b64 s[14:15], vcc
	s_cbranch_execz .LBB6_1310
; %bb.1307:
	s_mov_b64 s[16:17], 0
.LBB6_1308:                             ; =>This Inner Loop Header: Depth=1
	s_sleep 1
	global_load_dwordx2 v[5:6], v4, s[10:11] offset:40
	global_load_dwordx2 v[11:12], v4, s[10:11]
	v_mov_b32_e32 v7, v9
	v_mov_b32_e32 v8, v10
	s_waitcnt vmcnt(1)
	v_and_b32_e32 v5, v5, v7
	s_waitcnt vmcnt(0)
	v_mad_u64_u32 v[9:10], s[18:19], v5, 24, v[11:12]
	v_and_b32_e32 v6, v6, v8
	v_mov_b32_e32 v5, v10
	v_mad_u64_u32 v[5:6], s[18:19], v6, 24, v[5:6]
	v_mov_b32_e32 v10, v5
	global_load_dwordx2 v[5:6], v[9:10], off glc
	s_waitcnt vmcnt(0)
	global_atomic_cmpswap_x2 v[9:10], v4, v[5:8], s[10:11] offset:24 glc
	s_waitcnt vmcnt(0)
	buffer_wbinvl1_vol
	v_cmp_eq_u64_e32 vcc, v[9:10], v[7:8]
	s_or_b64 s[16:17], vcc, s[16:17]
	s_andn2_b64 exec, exec, s[16:17]
	s_cbranch_execnz .LBB6_1308
; %bb.1309:
	s_or_b64 exec, exec, s[16:17]
.LBB6_1310:
	s_or_b64 exec, exec, s[14:15]
.LBB6_1311:
	s_or_b64 exec, exec, s[12:13]
	v_mov_b32_e32 v4, 0
	global_load_dwordx2 v[11:12], v4, s[10:11] offset:40
	global_load_dwordx4 v[5:8], v4, s[10:11]
	v_readfirstlane_b32 s13, v10
	v_readfirstlane_b32 s12, v9
	s_mov_b64 s[14:15], exec
	s_waitcnt vmcnt(1)
	v_readfirstlane_b32 s16, v11
	v_readfirstlane_b32 s17, v12
	s_and_b64 s[16:17], s[16:17], s[12:13]
	s_mul_i32 s18, s17, 24
	s_mul_hi_u32 s19, s16, 24
	s_mul_i32 s20, s16, 24
	s_add_i32 s18, s19, s18
	v_mov_b32_e32 v10, s18
	s_waitcnt vmcnt(0)
	v_add_co_u32_e32 v9, vcc, s20, v5
	v_addc_co_u32_e32 v10, vcc, v6, v10, vcc
	s_and_saveexec_b64 s[18:19], s[6:7]
	s_cbranch_execz .LBB6_1313
; %bb.1312:
	v_mov_b32_e32 v11, s14
	v_mov_b32_e32 v12, s15
	;; [unrolled: 1-line block ×4, first 2 shown]
	global_store_dwordx4 v[9:10], v[11:14], off offset:8
.LBB6_1313:
	s_or_b64 exec, exec, s[18:19]
	s_lshl_b64 s[14:15], s[16:17], 12
	v_mov_b32_e32 v11, s15
	v_add_co_u32_e32 v7, vcc, s14, v7
	v_addc_co_u32_e32 v8, vcc, v8, v11, vcc
	s_movk_i32 s14, 0xff1d
	v_and_or_b32 v1, v1, s14, 34
	v_readfirstlane_b32 s14, v7
	v_readfirstlane_b32 s15, v8
	s_mov_b32 s16, 0
	s_mov_b32 s17, s16
	;; [unrolled: 1-line block ×4, first 2 shown]
	s_nop 0
	global_store_dwordx4 v34, v[1:4], s[14:15]
	s_nop 0
	v_mov_b32_e32 v1, s16
	v_mov_b32_e32 v2, s17
	v_mov_b32_e32 v3, s18
	v_mov_b32_e32 v4, s19
	global_store_dwordx4 v34, v[1:4], s[14:15] offset:16
	global_store_dwordx4 v34, v[1:4], s[14:15] offset:32
	;; [unrolled: 1-line block ×3, first 2 shown]
	s_and_saveexec_b64 s[14:15], s[6:7]
	s_cbranch_execz .LBB6_1321
; %bb.1314:
	v_mov_b32_e32 v7, 0
	global_load_dwordx2 v[13:14], v7, s[10:11] offset:32 glc
	global_load_dwordx2 v[1:2], v7, s[10:11] offset:40
	v_mov_b32_e32 v11, s12
	v_mov_b32_e32 v12, s13
	s_waitcnt vmcnt(0)
	v_readfirstlane_b32 s16, v1
	v_readfirstlane_b32 s17, v2
	s_and_b64 s[16:17], s[16:17], s[12:13]
	s_mul_i32 s17, s17, 24
	s_mul_hi_u32 s18, s16, 24
	s_mul_i32 s16, s16, 24
	s_add_i32 s17, s18, s17
	v_mov_b32_e32 v1, s17
	v_add_co_u32_e32 v5, vcc, s16, v5
	v_addc_co_u32_e32 v6, vcc, v6, v1, vcc
	global_store_dwordx2 v[5:6], v[13:14], off
	s_waitcnt vmcnt(0)
	global_atomic_cmpswap_x2 v[3:4], v7, v[11:14], s[10:11] offset:32 glc
	s_waitcnt vmcnt(0)
	v_cmp_ne_u64_e32 vcc, v[3:4], v[13:14]
	s_and_saveexec_b64 s[16:17], vcc
	s_cbranch_execz .LBB6_1317
; %bb.1315:
	s_mov_b64 s[18:19], 0
.LBB6_1316:                             ; =>This Inner Loop Header: Depth=1
	s_sleep 1
	global_store_dwordx2 v[5:6], v[3:4], off
	v_mov_b32_e32 v1, s12
	v_mov_b32_e32 v2, s13
	s_waitcnt vmcnt(0)
	global_atomic_cmpswap_x2 v[1:2], v7, v[1:4], s[10:11] offset:32 glc
	s_waitcnt vmcnt(0)
	v_cmp_eq_u64_e32 vcc, v[1:2], v[3:4]
	v_mov_b32_e32 v4, v2
	s_or_b64 s[18:19], vcc, s[18:19]
	v_mov_b32_e32 v3, v1
	s_andn2_b64 exec, exec, s[18:19]
	s_cbranch_execnz .LBB6_1316
.LBB6_1317:
	s_or_b64 exec, exec, s[16:17]
	v_mov_b32_e32 v4, 0
	global_load_dwordx2 v[1:2], v4, s[10:11] offset:16
	s_mov_b64 s[16:17], exec
	v_mbcnt_lo_u32_b32 v3, s16, 0
	v_mbcnt_hi_u32_b32 v3, s17, v3
	v_cmp_eq_u32_e32 vcc, 0, v3
	s_and_saveexec_b64 s[18:19], vcc
	s_cbranch_execz .LBB6_1319
; %bb.1318:
	s_bcnt1_i32_b64 s16, s[16:17]
	v_mov_b32_e32 v3, s16
	s_waitcnt vmcnt(0)
	global_atomic_add_x2 v[1:2], v[3:4], off offset:8
.LBB6_1319:
	s_or_b64 exec, exec, s[18:19]
	s_waitcnt vmcnt(0)
	global_load_dwordx2 v[3:4], v[1:2], off offset:16
	s_waitcnt vmcnt(0)
	v_cmp_eq_u64_e32 vcc, 0, v[3:4]
	s_cbranch_vccnz .LBB6_1321
; %bb.1320:
	global_load_dword v1, v[1:2], off offset:24
	v_mov_b32_e32 v2, 0
	s_waitcnt vmcnt(0)
	v_readfirstlane_b32 s16, v1
	s_and_b32 m0, s16, 0xffffff
	global_store_dwordx2 v[3:4], v[1:2], off
	s_sendmsg sendmsg(MSG_INTERRUPT)
.LBB6_1321:
	s_or_b64 exec, exec, s[14:15]
	s_branch .LBB6_1325
.LBB6_1322:                             ;   in Loop: Header=BB6_1325 Depth=1
	s_or_b64 exec, exec, s[14:15]
	v_readfirstlane_b32 s14, v1
	s_cmp_eq_u32 s14, 0
	s_cbranch_scc1 .LBB6_1324
; %bb.1323:                             ;   in Loop: Header=BB6_1325 Depth=1
	s_sleep 1
	s_cbranch_execnz .LBB6_1325
	s_branch .LBB6_1327
.LBB6_1324:
	s_branch .LBB6_1327
.LBB6_1325:                             ; =>This Inner Loop Header: Depth=1
	v_mov_b32_e32 v1, 1
	s_and_saveexec_b64 s[14:15], s[6:7]
	s_cbranch_execz .LBB6_1322
; %bb.1326:                             ;   in Loop: Header=BB6_1325 Depth=1
	global_load_dword v1, v[9:10], off offset:20 glc
	s_waitcnt vmcnt(0)
	buffer_wbinvl1_vol
	v_and_b32_e32 v1, 1, v1
	s_branch .LBB6_1322
.LBB6_1327:
	s_and_b64 exec, exec, s[6:7]
	s_cbranch_execz .LBB6_1330
; %bb.1328:
	v_mov_b32_e32 v7, 0
	global_load_dwordx2 v[1:2], v7, s[10:11] offset:40
	global_load_dwordx2 v[10:11], v7, s[10:11] offset:24 glc
	global_load_dwordx2 v[3:4], v7, s[10:11]
	s_waitcnt vmcnt(2)
	v_readfirstlane_b32 s14, v1
	v_readfirstlane_b32 s15, v2
	s_add_u32 s16, s14, 1
	s_addc_u32 s17, s15, 0
	s_add_u32 s6, s16, s12
	s_addc_u32 s7, s17, s13
	s_cmp_eq_u64 s[6:7], 0
	s_cselect_b32 s7, s17, s7
	s_cselect_b32 s6, s16, s6
	s_and_b64 s[12:13], s[6:7], s[14:15]
	s_mul_i32 s13, s13, 24
	s_mul_hi_u32 s14, s12, 24
	s_mul_i32 s12, s12, 24
	s_add_i32 s13, s14, s13
	v_mov_b32_e32 v1, s13
	s_waitcnt vmcnt(0)
	v_add_co_u32_e32 v5, vcc, s12, v3
	v_addc_co_u32_e32 v6, vcc, v4, v1, vcc
	v_mov_b32_e32 v8, s6
	global_store_dwordx2 v[5:6], v[10:11], off
	v_mov_b32_e32 v9, s7
	s_waitcnt vmcnt(0)
	global_atomic_cmpswap_x2 v[3:4], v7, v[8:11], s[10:11] offset:24 glc
	s_mov_b64 s[12:13], 0
	s_waitcnt vmcnt(0)
	v_cmp_ne_u64_e32 vcc, v[3:4], v[10:11]
	s_and_b64 exec, exec, vcc
	s_cbranch_execz .LBB6_1330
.LBB6_1329:                             ; =>This Inner Loop Header: Depth=1
	s_sleep 1
	global_store_dwordx2 v[5:6], v[3:4], off
	v_mov_b32_e32 v1, s6
	v_mov_b32_e32 v2, s7
	s_waitcnt vmcnt(0)
	global_atomic_cmpswap_x2 v[1:2], v7, v[1:4], s[10:11] offset:24 glc
	s_waitcnt vmcnt(0)
	v_cmp_eq_u64_e32 vcc, v[1:2], v[3:4]
	v_mov_b32_e32 v4, v2
	s_or_b64 s[12:13], vcc, s[12:13]
	v_mov_b32_e32 v3, v1
	s_andn2_b64 exec, exec, s[12:13]
	s_cbranch_execnz .LBB6_1329
.LBB6_1330:
	s_or_b64 exec, exec, s[8:9]
	v_or_b32_e32 v0, v0, v41
	v_cmp_lt_i32_e32 vcc, -1, v0
	s_xor_b64 s[4:5], s[4:5], -1
	s_and_b64 s[4:5], vcc, s[4:5]
	s_mov_b64 s[40:41], 0
                                        ; implicit-def: $vgpr41
	s_and_saveexec_b64 s[6:7], s[4:5]
	s_xor_b64 s[4:5], exec, s[6:7]
	s_cbranch_execz .LBB6_1332
; %bb.1331:
	flat_load_dword v0, v[42:43]
	v_lshl_or_b32 v29, v33, 1, 1
	s_mov_b64 s[40:41], exec
	s_waitcnt vmcnt(0) lgkmcnt(0)
	v_ashrrev_i32_e32 v1, 31, v0
	v_add_u32_e32 v2, 1, v0
	flat_store_dword v[42:43], v2
	v_lshlrev_b64 v[1:2], 3, v[0:1]
	v_lshl_or_b32 v41, v0, 1, 1
	v_add_co_u32_e32 v1, vcc, v42, v1
	v_addc_co_u32_e32 v2, vcc, v43, v2, vcc
	flat_store_dwordx2 v[1:2], v[29:30] offset:8
.LBB6_1332:
	s_or_saveexec_b64 s[42:43], s[4:5]
	s_mov_b64 s[4:5], s[26:27]
	s_xor_b64 exec, exec, s[42:43]
	s_cbranch_execz .LBB6_1334
; %bb.1333:
	s_getpc_b64 s[4:5]
	s_add_u32 s4, s4, .str.46@rel32@lo+4
	s_addc_u32 s5, s5, .str.46@rel32@hi+12
	s_getpc_b64 s[6:7]
	s_add_u32 s6, s6, .str.44@rel32@lo+4
	s_addc_u32 s7, s7, .str.44@rel32@hi+12
	s_getpc_b64 s[10:11]
	s_add_u32 s10, s10, __PRETTY_FUNCTION__._ZN8subgUtil18formAndNodeKeyFlagEiii@rel32@lo+4
	s_addc_u32 s11, s11, __PRETTY_FUNCTION__._ZN8subgUtil18formAndNodeKeyFlagEiii@rel32@hi+12
	s_getpc_b64 s[12:13]
	s_add_u32 s12, s12, __assert_fail@rel32@lo+4
	s_addc_u32 s13, s13, __assert_fail@rel32@hi+12
	s_mov_b64 s[8:9], s[64:65]
	v_mov_b32_e32 v0, s4
	v_mov_b32_e32 v1, s5
	;; [unrolled: 1-line block ×7, first 2 shown]
	s_swappc_b64 s[30:31], s[12:13]
	s_or_b64 s[4:5], s[26:27], exec
.LBB6_1334:
	s_or_b64 exec, exec, s[42:43]
	s_andn2_b64 s[6:7], s[26:27], exec
	s_and_b64 s[4:5], s[4:5], exec
	s_or_b64 s[26:27], s[6:7], s[4:5]
	s_and_b64 s[6:7], s[40:41], exec
.LBB6_1335:
	s_or_b64 exec, exec, s[28:29]
	s_andn2_b64 s[4:5], s[34:35], exec
	s_and_b64 s[8:9], s[26:27], exec
	s_or_b64 s[4:5], s[4:5], s[8:9]
	s_orn2_b64 s[6:7], s[6:7], exec
.LBB6_1336:
	s_or_b64 exec, exec, s[48:49]
	s_mov_b64 s[8:9], 0
	s_and_saveexec_b64 s[10:11], s[6:7]
	s_xor_b64 s[6:7], exec, s[10:11]
; %bb.1337:
	s_mov_b64 s[8:9], exec
; %bb.1338:
	s_or_b64 exec, exec, s[6:7]
	s_andn2_b64 s[6:7], s[34:35], exec
	s_and_b64 s[4:5], s[4:5], exec
	s_or_b64 s[28:29], s[6:7], s[4:5]
	s_and_b64 s[26:27], s[8:9], exec
.LBB6_1339:
	s_andn2_saveexec_b64 s[40:41], s[38:39]
	s_cbranch_execz .LBB6_1341
; %bb.1340:
	s_getpc_b64 s[4:5]
	s_add_u32 s4, s4, .str.46@rel32@lo+4
	s_addc_u32 s5, s5, .str.46@rel32@hi+12
	s_getpc_b64 s[6:7]
	s_add_u32 s6, s6, .str.44@rel32@lo+4
	s_addc_u32 s7, s7, .str.44@rel32@hi+12
	s_getpc_b64 s[10:11]
	s_add_u32 s10, s10, __PRETTY_FUNCTION__._ZN8subgUtil18formAndNodeKeyFlagEiii@rel32@lo+4
	s_addc_u32 s11, s11, __PRETTY_FUNCTION__._ZN8subgUtil18formAndNodeKeyFlagEiii@rel32@hi+12
	s_getpc_b64 s[12:13]
	s_add_u32 s12, s12, __assert_fail@rel32@lo+4
	s_addc_u32 s13, s13, __assert_fail@rel32@hi+12
	s_mov_b64 s[8:9], s[64:65]
	v_mov_b32_e32 v0, s4
	v_mov_b32_e32 v1, s5
	v_mov_b32_e32 v2, s6
	v_mov_b32_e32 v3, s7
	v_mov_b32_e32 v4, 35
	v_mov_b32_e32 v5, s10
	v_mov_b32_e32 v6, s11
	s_swappc_b64 s[30:31], s[12:13]
	s_or_b64 s[28:29], s[28:29], exec
.LBB6_1341:
	s_or_b64 exec, exec, s[40:41]
	s_andn2_b64 s[4:5], s[34:35], exec
	s_and_b64 s[6:7], s[28:29], exec
	s_or_b64 s[34:35], s[4:5], s[6:7]
	s_and_b64 s[4:5], s[26:27], exec
.LBB6_1342:
	s_or_b64 exec, exec, s[36:37]
	s_andn2_b64 s[6:7], s[96:97], exec
	s_and_b64 s[8:9], s[34:35], exec
	s_or_b64 s[96:97], s[6:7], s[8:9]
	s_and_b64 s[6:7], s[4:5], exec
.LBB6_1343:
	v_readlane_b32 s4, v62, 48
	v_readlane_b32 s5, v62, 49
	s_or_b64 exec, exec, s[4:5]
	s_andn2_b64 s[4:5], s[84:85], exec
	s_and_b64 s[8:9], s[96:97], exec
	s_or_b64 s[84:85], s[4:5], s[8:9]
	s_and_b64 s[6:7], s[6:7], exec
.LBB6_1344:
	v_readlane_b32 s4, v62, 46
	v_readlane_b32 s5, v62, 47
	s_or_b64 exec, exec, s[4:5]
	v_readlane_b32 s4, v62, 6
	v_readlane_b32 s5, v62, 7
	s_andn2_b64 s[4:5], s[4:5], exec
	s_and_b64 s[8:9], s[84:85], exec
	s_or_b64 s[28:29], s[4:5], s[8:9]
	s_and_b64 s[26:27], s[6:7], exec
.LBB6_1345:
	v_readlane_b32 s4, v62, 44
	v_readlane_b32 s5, v62, 45
	s_andn2_saveexec_b64 s[40:41], s[4:5]
	s_cbranch_execz .LBB6_1493
; %bb.1346:
	s_load_dwordx2 s[6:7], s[64:65], 0x50
	v_mbcnt_lo_u32_b32 v0, -1, 0
	v_mbcnt_hi_u32_b32 v30, -1, v0
	v_readfirstlane_b32 s4, v30
	v_mov_b32_e32 v5, 0
	v_mov_b32_e32 v6, 0
	v_cmp_eq_u32_e64 s[4:5], s4, v30
	s_and_saveexec_b64 s[8:9], s[4:5]
	s_cbranch_execz .LBB6_1352
; %bb.1347:
	v_mov_b32_e32 v0, 0
	s_waitcnt lgkmcnt(0)
	global_load_dwordx2 v[3:4], v0, s[6:7] offset:24 glc
	s_waitcnt vmcnt(0)
	buffer_wbinvl1_vol
	global_load_dwordx2 v[1:2], v0, s[6:7] offset:40
	global_load_dwordx2 v[5:6], v0, s[6:7]
	s_waitcnt vmcnt(1)
	v_and_b32_e32 v1, v1, v3
	v_and_b32_e32 v2, v2, v4
	v_mul_lo_u32 v2, v2, 24
	v_mul_hi_u32 v7, v1, 24
	v_mul_lo_u32 v1, v1, 24
	v_add_u32_e32 v2, v7, v2
	s_waitcnt vmcnt(0)
	v_add_co_u32_e32 v1, vcc, v5, v1
	v_addc_co_u32_e32 v2, vcc, v6, v2, vcc
	global_load_dwordx2 v[1:2], v[1:2], off glc
	s_waitcnt vmcnt(0)
	global_atomic_cmpswap_x2 v[5:6], v0, v[1:4], s[6:7] offset:24 glc
	s_waitcnt vmcnt(0)
	buffer_wbinvl1_vol
	v_cmp_ne_u64_e32 vcc, v[5:6], v[3:4]
	s_and_saveexec_b64 s[10:11], vcc
	s_cbranch_execz .LBB6_1351
; %bb.1348:
	s_mov_b64 s[12:13], 0
.LBB6_1349:                             ; =>This Inner Loop Header: Depth=1
	s_sleep 1
	global_load_dwordx2 v[1:2], v0, s[6:7] offset:40
	global_load_dwordx2 v[7:8], v0, s[6:7]
	v_mov_b32_e32 v3, v5
	v_mov_b32_e32 v4, v6
	s_waitcnt vmcnt(1)
	v_and_b32_e32 v1, v1, v3
	s_waitcnt vmcnt(0)
	v_mad_u64_u32 v[5:6], s[14:15], v1, 24, v[7:8]
	v_and_b32_e32 v2, v2, v4
	v_mov_b32_e32 v1, v6
	v_mad_u64_u32 v[1:2], s[14:15], v2, 24, v[1:2]
	v_mov_b32_e32 v6, v1
	global_load_dwordx2 v[1:2], v[5:6], off glc
	s_waitcnt vmcnt(0)
	global_atomic_cmpswap_x2 v[5:6], v0, v[1:4], s[6:7] offset:24 glc
	s_waitcnt vmcnt(0)
	buffer_wbinvl1_vol
	v_cmp_eq_u64_e32 vcc, v[5:6], v[3:4]
	s_or_b64 s[12:13], vcc, s[12:13]
	s_andn2_b64 exec, exec, s[12:13]
	s_cbranch_execnz .LBB6_1349
; %bb.1350:
	s_or_b64 exec, exec, s[12:13]
.LBB6_1351:
	s_or_b64 exec, exec, s[10:11]
.LBB6_1352:
	s_or_b64 exec, exec, s[8:9]
	v_mov_b32_e32 v4, 0
	s_waitcnt lgkmcnt(0)
	global_load_dwordx2 v[7:8], v4, s[6:7] offset:40
	global_load_dwordx4 v[0:3], v4, s[6:7]
	v_readfirstlane_b32 s9, v6
	v_readfirstlane_b32 s8, v5
	s_mov_b64 s[10:11], exec
	s_waitcnt vmcnt(0)
	v_readfirstlane_b32 s12, v7
	v_readfirstlane_b32 s13, v8
	s_and_b64 s[12:13], s[12:13], s[8:9]
	s_mul_i32 s14, s13, 24
	s_mul_hi_u32 s15, s12, 24
	s_mul_i32 s16, s12, 24
	s_add_i32 s14, s15, s14
	v_mov_b32_e32 v5, s14
	v_add_co_u32_e32 v7, vcc, s16, v0
	v_addc_co_u32_e32 v8, vcc, v1, v5, vcc
	s_and_saveexec_b64 s[14:15], s[4:5]
	s_cbranch_execz .LBB6_1354
; %bb.1353:
	v_mov_b32_e32 v9, s10
	v_mov_b32_e32 v10, s11
	;; [unrolled: 1-line block ×4, first 2 shown]
	global_store_dwordx4 v[7:8], v[9:12], off offset:8
.LBB6_1354:
	s_or_b64 exec, exec, s[14:15]
	s_lshl_b64 s[10:11], s[12:13], 12
	v_mov_b32_e32 v5, s11
	v_add_co_u32_e32 v2, vcc, s10, v2
	v_addc_co_u32_e32 v11, vcc, v3, v5, vcc
	v_lshlrev_b32_e32 v29, 6, v30
	s_mov_b32 s12, 0
	v_mov_b32_e32 v3, 33
	v_mov_b32_e32 v5, v4
	;; [unrolled: 1-line block ×3, first 2 shown]
	v_readfirstlane_b32 s10, v2
	v_readfirstlane_b32 s11, v11
	v_add_co_u32_e32 v9, vcc, v2, v29
	s_mov_b32 s13, s12
	s_mov_b32 s14, s12
	;; [unrolled: 1-line block ×3, first 2 shown]
	s_nop 0
	global_store_dwordx4 v29, v[3:6], s[10:11]
	v_mov_b32_e32 v2, s12
	v_addc_co_u32_e32 v10, vcc, 0, v11, vcc
	v_mov_b32_e32 v3, s13
	v_mov_b32_e32 v4, s14
	;; [unrolled: 1-line block ×3, first 2 shown]
	global_store_dwordx4 v29, v[2:5], s[10:11] offset:16
	global_store_dwordx4 v29, v[2:5], s[10:11] offset:32
	;; [unrolled: 1-line block ×3, first 2 shown]
	s_and_saveexec_b64 s[10:11], s[4:5]
	s_cbranch_execz .LBB6_1362
; %bb.1355:
	v_mov_b32_e32 v6, 0
	global_load_dwordx2 v[13:14], v6, s[6:7] offset:32 glc
	global_load_dwordx2 v[2:3], v6, s[6:7] offset:40
	v_mov_b32_e32 v11, s8
	v_mov_b32_e32 v12, s9
	s_waitcnt vmcnt(0)
	v_and_b32_e32 v2, s8, v2
	v_and_b32_e32 v3, s9, v3
	v_mul_lo_u32 v3, v3, 24
	v_mul_hi_u32 v4, v2, 24
	v_mul_lo_u32 v2, v2, 24
	v_add_u32_e32 v3, v4, v3
	v_add_co_u32_e32 v4, vcc, v0, v2
	v_addc_co_u32_e32 v5, vcc, v1, v3, vcc
	global_store_dwordx2 v[4:5], v[13:14], off
	s_waitcnt vmcnt(0)
	global_atomic_cmpswap_x2 v[2:3], v6, v[11:14], s[6:7] offset:32 glc
	s_waitcnt vmcnt(0)
	v_cmp_ne_u64_e32 vcc, v[2:3], v[13:14]
	s_and_saveexec_b64 s[12:13], vcc
	s_cbranch_execz .LBB6_1358
; %bb.1356:
	s_mov_b64 s[14:15], 0
.LBB6_1357:                             ; =>This Inner Loop Header: Depth=1
	s_sleep 1
	global_store_dwordx2 v[4:5], v[2:3], off
	v_mov_b32_e32 v0, s8
	v_mov_b32_e32 v1, s9
	s_waitcnt vmcnt(0)
	global_atomic_cmpswap_x2 v[0:1], v6, v[0:3], s[6:7] offset:32 glc
	s_waitcnt vmcnt(0)
	v_cmp_eq_u64_e32 vcc, v[0:1], v[2:3]
	v_mov_b32_e32 v3, v1
	s_or_b64 s[14:15], vcc, s[14:15]
	v_mov_b32_e32 v2, v0
	s_andn2_b64 exec, exec, s[14:15]
	s_cbranch_execnz .LBB6_1357
.LBB6_1358:
	s_or_b64 exec, exec, s[12:13]
	v_mov_b32_e32 v3, 0
	global_load_dwordx2 v[0:1], v3, s[6:7] offset:16
	s_mov_b64 s[12:13], exec
	v_mbcnt_lo_u32_b32 v2, s12, 0
	v_mbcnt_hi_u32_b32 v2, s13, v2
	v_cmp_eq_u32_e32 vcc, 0, v2
	s_and_saveexec_b64 s[14:15], vcc
	s_cbranch_execz .LBB6_1360
; %bb.1359:
	s_bcnt1_i32_b64 s12, s[12:13]
	v_mov_b32_e32 v2, s12
	s_waitcnt vmcnt(0)
	global_atomic_add_x2 v[0:1], v[2:3], off offset:8
.LBB6_1360:
	s_or_b64 exec, exec, s[14:15]
	s_waitcnt vmcnt(0)
	global_load_dwordx2 v[2:3], v[0:1], off offset:16
	s_waitcnt vmcnt(0)
	v_cmp_eq_u64_e32 vcc, 0, v[2:3]
	s_cbranch_vccnz .LBB6_1362
; %bb.1361:
	global_load_dword v0, v[0:1], off offset:24
	v_mov_b32_e32 v1, 0
	s_waitcnt vmcnt(0)
	v_readfirstlane_b32 s12, v0
	s_and_b32 m0, s12, 0xffffff
	global_store_dwordx2 v[2:3], v[0:1], off
	s_sendmsg sendmsg(MSG_INTERRUPT)
.LBB6_1362:
	s_or_b64 exec, exec, s[10:11]
	s_branch .LBB6_1366
.LBB6_1363:                             ;   in Loop: Header=BB6_1366 Depth=1
	s_or_b64 exec, exec, s[10:11]
	v_readfirstlane_b32 s10, v0
	s_cmp_eq_u32 s10, 0
	s_cbranch_scc1 .LBB6_1365
; %bb.1364:                             ;   in Loop: Header=BB6_1366 Depth=1
	s_sleep 1
	s_cbranch_execnz .LBB6_1366
	s_branch .LBB6_1368
.LBB6_1365:
	s_branch .LBB6_1368
.LBB6_1366:                             ; =>This Inner Loop Header: Depth=1
	v_mov_b32_e32 v0, 1
	s_and_saveexec_b64 s[10:11], s[4:5]
	s_cbranch_execz .LBB6_1363
; %bb.1367:                             ;   in Loop: Header=BB6_1366 Depth=1
	global_load_dword v0, v[7:8], off offset:20 glc
	s_waitcnt vmcnt(0)
	buffer_wbinvl1_vol
	v_and_b32_e32 v0, 1, v0
	s_branch .LBB6_1363
.LBB6_1368:
	global_load_dwordx2 v[0:1], v[9:10], off
	s_and_saveexec_b64 s[10:11], s[4:5]
	s_cbranch_execz .LBB6_1371
; %bb.1369:
	v_mov_b32_e32 v8, 0
	global_load_dwordx2 v[2:3], v8, s[6:7] offset:40
	global_load_dwordx2 v[11:12], v8, s[6:7] offset:24 glc
	global_load_dwordx2 v[4:5], v8, s[6:7]
	s_waitcnt vmcnt(2)
	v_readfirstlane_b32 s12, v2
	v_readfirstlane_b32 s13, v3
	s_add_u32 s14, s12, 1
	s_addc_u32 s15, s13, 0
	s_add_u32 s4, s14, s8
	s_addc_u32 s5, s15, s9
	s_cmp_eq_u64 s[4:5], 0
	s_cselect_b32 s5, s15, s5
	s_cselect_b32 s4, s14, s4
	s_and_b64 s[8:9], s[4:5], s[12:13]
	s_mul_i32 s9, s9, 24
	s_mul_hi_u32 s12, s8, 24
	s_mul_i32 s8, s8, 24
	s_add_i32 s9, s12, s9
	v_mov_b32_e32 v2, s9
	s_waitcnt vmcnt(0)
	v_add_co_u32_e32 v6, vcc, s8, v4
	v_addc_co_u32_e32 v7, vcc, v5, v2, vcc
	v_mov_b32_e32 v9, s4
	global_store_dwordx2 v[6:7], v[11:12], off
	v_mov_b32_e32 v10, s5
	s_waitcnt vmcnt(0)
	global_atomic_cmpswap_x2 v[4:5], v8, v[9:12], s[6:7] offset:24 glc
	s_mov_b64 s[8:9], 0
	s_waitcnt vmcnt(0)
	v_cmp_ne_u64_e32 vcc, v[4:5], v[11:12]
	s_and_b64 exec, exec, vcc
	s_cbranch_execz .LBB6_1371
.LBB6_1370:                             ; =>This Inner Loop Header: Depth=1
	s_sleep 1
	global_store_dwordx2 v[6:7], v[4:5], off
	v_mov_b32_e32 v2, s4
	v_mov_b32_e32 v3, s5
	s_waitcnt vmcnt(0)
	global_atomic_cmpswap_x2 v[2:3], v8, v[2:5], s[6:7] offset:24 glc
	s_waitcnt vmcnt(0)
	v_cmp_eq_u64_e32 vcc, v[2:3], v[4:5]
	v_mov_b32_e32 v5, v3
	s_or_b64 s[8:9], vcc, s[8:9]
	v_mov_b32_e32 v4, v2
	s_andn2_b64 exec, exec, s[8:9]
	s_cbranch_execnz .LBB6_1370
.LBB6_1371:
	s_or_b64 exec, exec, s[10:11]
	s_getpc_b64 s[8:9]
	s_add_u32 s8, s8, .str.28@rel32@lo+4
	s_addc_u32 s9, s9, .str.28@rel32@hi+12
	s_cmp_lg_u64 s[8:9], 0
	s_cbranch_scc0 .LBB6_1464
; %bb.1372:
	s_waitcnt vmcnt(0)
	v_and_b32_e32 v6, -3, v0
	v_mov_b32_e32 v7, v1
	s_mov_b64 s[10:11], 35
	v_mov_b32_e32 v26, 0
	v_mov_b32_e32 v4, 2
	;; [unrolled: 1-line block ×3, first 2 shown]
	s_branch .LBB6_1374
.LBB6_1373:                             ;   in Loop: Header=BB6_1374 Depth=1
	s_or_b64 exec, exec, s[16:17]
	s_sub_u32 s10, s10, s12
	s_subb_u32 s11, s11, s13
	s_add_u32 s8, s8, s12
	s_addc_u32 s9, s9, s13
	s_cmp_lg_u64 s[10:11], 0
	s_cbranch_scc0 .LBB6_1463
.LBB6_1374:                             ; =>This Loop Header: Depth=1
                                        ;     Child Loop BB6_1377 Depth 2
                                        ;     Child Loop BB6_1386 Depth 2
	;; [unrolled: 1-line block ×11, first 2 shown]
	v_cmp_lt_u64_e64 s[4:5], s[10:11], 56
	v_cmp_gt_u64_e64 s[14:15], s[10:11], 7
	s_and_b64 s[4:5], s[4:5], exec
	s_cselect_b32 s13, s11, 0
	s_cselect_b32 s12, s10, 56
	s_add_u32 s4, s8, 8
	s_addc_u32 s5, s9, 0
	s_and_b64 vcc, exec, s[14:15]
	s_cbranch_vccnz .LBB6_1378
; %bb.1375:                             ;   in Loop: Header=BB6_1374 Depth=1
	s_cmp_eq_u64 s[10:11], 0
	s_cbranch_scc1 .LBB6_1379
; %bb.1376:                             ;   in Loop: Header=BB6_1374 Depth=1
	s_waitcnt vmcnt(0)
	v_mov_b32_e32 v8, 0
	s_lshl_b64 s[4:5], s[12:13], 3
	s_mov_b64 s[14:15], 0
	v_mov_b32_e32 v9, 0
	s_mov_b64 s[16:17], s[8:9]
.LBB6_1377:                             ;   Parent Loop BB6_1374 Depth=1
                                        ; =>  This Inner Loop Header: Depth=2
	global_load_ubyte v2, v26, s[16:17]
	s_waitcnt vmcnt(0)
	v_and_b32_e32 v25, 0xffff, v2
	v_lshlrev_b64 v[2:3], s14, v[25:26]
	s_add_u32 s14, s14, 8
	s_addc_u32 s15, s15, 0
	s_add_u32 s16, s16, 1
	s_addc_u32 s17, s17, 0
	v_or_b32_e32 v8, v2, v8
	s_cmp_lg_u32 s4, s14
	v_or_b32_e32 v9, v3, v9
	s_cbranch_scc1 .LBB6_1377
	s_branch .LBB6_1380
.LBB6_1378:                             ;   in Loop: Header=BB6_1374 Depth=1
	s_mov_b64 s[14:15], -1
	s_branch .LBB6_1381
.LBB6_1379:                             ;   in Loop: Header=BB6_1374 Depth=1
	s_waitcnt vmcnt(0)
	v_mov_b32_e32 v8, 0
	v_mov_b32_e32 v9, 0
.LBB6_1380:                             ;   in Loop: Header=BB6_1374 Depth=1
	s_mov_b64 s[14:15], 0
	s_mov_b64 s[4:5], s[8:9]
.LBB6_1381:                             ;   in Loop: Header=BB6_1374 Depth=1
	s_andn2_b64 vcc, exec, s[14:15]
	s_mov_b32 s18, 0
	s_cbranch_vccnz .LBB6_1383
; %bb.1382:                             ;   in Loop: Header=BB6_1374 Depth=1
	global_load_dwordx2 v[8:9], v26, s[8:9]
	s_add_i32 s18, s12, -8
.LBB6_1383:                             ;   in Loop: Header=BB6_1374 Depth=1
	s_add_u32 s14, s4, 8
	s_addc_u32 s15, s5, 0
	s_cmp_gt_u32 s18, 7
	s_cbranch_scc1 .LBB6_1387
; %bb.1384:                             ;   in Loop: Header=BB6_1374 Depth=1
	s_cmp_eq_u32 s18, 0
	s_cbranch_scc1 .LBB6_1388
; %bb.1385:                             ;   in Loop: Header=BB6_1374 Depth=1
	v_mov_b32_e32 v10, 0
	s_mov_b64 s[14:15], 0
	v_mov_b32_e32 v11, 0
	s_mov_b64 s[16:17], 0
.LBB6_1386:                             ;   Parent Loop BB6_1374 Depth=1
                                        ; =>  This Inner Loop Header: Depth=2
	s_add_u32 s20, s4, s16
	s_addc_u32 s21, s5, s17
	global_load_ubyte v2, v26, s[20:21]
	s_add_u32 s16, s16, 1
	s_addc_u32 s17, s17, 0
	s_waitcnt vmcnt(0)
	v_and_b32_e32 v25, 0xffff, v2
	v_lshlrev_b64 v[2:3], s14, v[25:26]
	s_add_u32 s14, s14, 8
	s_addc_u32 s15, s15, 0
	v_or_b32_e32 v10, v2, v10
	s_cmp_lg_u32 s18, s16
	v_or_b32_e32 v11, v3, v11
	s_cbranch_scc1 .LBB6_1386
	s_branch .LBB6_1389
.LBB6_1387:                             ;   in Loop: Header=BB6_1374 Depth=1
	s_mov_b64 s[16:17], -1
                                        ; implicit-def: $vgpr10_vgpr11
	s_branch .LBB6_1390
.LBB6_1388:                             ;   in Loop: Header=BB6_1374 Depth=1
	v_mov_b32_e32 v10, 0
	v_mov_b32_e32 v11, 0
.LBB6_1389:                             ;   in Loop: Header=BB6_1374 Depth=1
	s_mov_b64 s[16:17], 0
	s_mov_b64 s[14:15], s[4:5]
.LBB6_1390:                             ;   in Loop: Header=BB6_1374 Depth=1
	s_andn2_b64 vcc, exec, s[16:17]
	s_mov_b32 s19, 0
	s_cbranch_vccnz .LBB6_1392
; %bb.1391:                             ;   in Loop: Header=BB6_1374 Depth=1
	global_load_dwordx2 v[10:11], v26, s[4:5]
	s_add_i32 s19, s18, -8
.LBB6_1392:                             ;   in Loop: Header=BB6_1374 Depth=1
	s_add_u32 s4, s14, 8
	s_addc_u32 s5, s15, 0
	s_cmp_gt_u32 s19, 7
	s_cbranch_scc1 .LBB6_1396
; %bb.1393:                             ;   in Loop: Header=BB6_1374 Depth=1
	s_cmp_eq_u32 s19, 0
	s_cbranch_scc1 .LBB6_1397
; %bb.1394:                             ;   in Loop: Header=BB6_1374 Depth=1
	v_mov_b32_e32 v12, 0
	s_mov_b64 s[4:5], 0
	v_mov_b32_e32 v13, 0
	s_mov_b64 s[16:17], 0
.LBB6_1395:                             ;   Parent Loop BB6_1374 Depth=1
                                        ; =>  This Inner Loop Header: Depth=2
	s_add_u32 s20, s14, s16
	s_addc_u32 s21, s15, s17
	global_load_ubyte v2, v26, s[20:21]
	s_add_u32 s16, s16, 1
	s_addc_u32 s17, s17, 0
	s_waitcnt vmcnt(0)
	v_and_b32_e32 v25, 0xffff, v2
	v_lshlrev_b64 v[2:3], s4, v[25:26]
	s_add_u32 s4, s4, 8
	s_addc_u32 s5, s5, 0
	v_or_b32_e32 v12, v2, v12
	s_cmp_lg_u32 s19, s16
	v_or_b32_e32 v13, v3, v13
	s_cbranch_scc1 .LBB6_1395
	s_branch .LBB6_1398
.LBB6_1396:                             ;   in Loop: Header=BB6_1374 Depth=1
	s_mov_b64 s[16:17], -1
	s_branch .LBB6_1399
.LBB6_1397:                             ;   in Loop: Header=BB6_1374 Depth=1
	v_mov_b32_e32 v12, 0
	v_mov_b32_e32 v13, 0
.LBB6_1398:                             ;   in Loop: Header=BB6_1374 Depth=1
	s_mov_b64 s[16:17], 0
	s_mov_b64 s[4:5], s[14:15]
.LBB6_1399:                             ;   in Loop: Header=BB6_1374 Depth=1
	s_andn2_b64 vcc, exec, s[16:17]
	s_mov_b32 s18, 0
	s_cbranch_vccnz .LBB6_1401
; %bb.1400:                             ;   in Loop: Header=BB6_1374 Depth=1
	global_load_dwordx2 v[12:13], v26, s[14:15]
	s_add_i32 s18, s19, -8
.LBB6_1401:                             ;   in Loop: Header=BB6_1374 Depth=1
	s_add_u32 s14, s4, 8
	s_addc_u32 s15, s5, 0
	s_cmp_gt_u32 s18, 7
	s_cbranch_scc1 .LBB6_1405
; %bb.1402:                             ;   in Loop: Header=BB6_1374 Depth=1
	s_cmp_eq_u32 s18, 0
	s_cbranch_scc1 .LBB6_1406
; %bb.1403:                             ;   in Loop: Header=BB6_1374 Depth=1
	v_mov_b32_e32 v14, 0
	s_mov_b64 s[14:15], 0
	v_mov_b32_e32 v15, 0
	s_mov_b64 s[16:17], 0
.LBB6_1404:                             ;   Parent Loop BB6_1374 Depth=1
                                        ; =>  This Inner Loop Header: Depth=2
	s_add_u32 s20, s4, s16
	s_addc_u32 s21, s5, s17
	global_load_ubyte v2, v26, s[20:21]
	s_add_u32 s16, s16, 1
	s_addc_u32 s17, s17, 0
	s_waitcnt vmcnt(0)
	v_and_b32_e32 v25, 0xffff, v2
	v_lshlrev_b64 v[2:3], s14, v[25:26]
	s_add_u32 s14, s14, 8
	s_addc_u32 s15, s15, 0
	v_or_b32_e32 v14, v2, v14
	s_cmp_lg_u32 s18, s16
	v_or_b32_e32 v15, v3, v15
	s_cbranch_scc1 .LBB6_1404
	s_branch .LBB6_1407
.LBB6_1405:                             ;   in Loop: Header=BB6_1374 Depth=1
	s_mov_b64 s[16:17], -1
                                        ; implicit-def: $vgpr14_vgpr15
	s_branch .LBB6_1408
.LBB6_1406:                             ;   in Loop: Header=BB6_1374 Depth=1
	v_mov_b32_e32 v14, 0
	v_mov_b32_e32 v15, 0
.LBB6_1407:                             ;   in Loop: Header=BB6_1374 Depth=1
	s_mov_b64 s[16:17], 0
	s_mov_b64 s[14:15], s[4:5]
.LBB6_1408:                             ;   in Loop: Header=BB6_1374 Depth=1
	s_andn2_b64 vcc, exec, s[16:17]
	s_mov_b32 s19, 0
	s_cbranch_vccnz .LBB6_1410
; %bb.1409:                             ;   in Loop: Header=BB6_1374 Depth=1
	global_load_dwordx2 v[14:15], v26, s[4:5]
	s_add_i32 s19, s18, -8
.LBB6_1410:                             ;   in Loop: Header=BB6_1374 Depth=1
	s_add_u32 s4, s14, 8
	s_addc_u32 s5, s15, 0
	s_cmp_gt_u32 s19, 7
	s_cbranch_scc1 .LBB6_1414
; %bb.1411:                             ;   in Loop: Header=BB6_1374 Depth=1
	s_cmp_eq_u32 s19, 0
	s_cbranch_scc1 .LBB6_1415
; %bb.1412:                             ;   in Loop: Header=BB6_1374 Depth=1
	v_mov_b32_e32 v16, 0
	s_mov_b64 s[4:5], 0
	v_mov_b32_e32 v17, 0
	s_mov_b64 s[16:17], 0
.LBB6_1413:                             ;   Parent Loop BB6_1374 Depth=1
                                        ; =>  This Inner Loop Header: Depth=2
	s_add_u32 s20, s14, s16
	s_addc_u32 s21, s15, s17
	global_load_ubyte v2, v26, s[20:21]
	s_add_u32 s16, s16, 1
	s_addc_u32 s17, s17, 0
	s_waitcnt vmcnt(0)
	v_and_b32_e32 v25, 0xffff, v2
	v_lshlrev_b64 v[2:3], s4, v[25:26]
	s_add_u32 s4, s4, 8
	s_addc_u32 s5, s5, 0
	v_or_b32_e32 v16, v2, v16
	s_cmp_lg_u32 s19, s16
	v_or_b32_e32 v17, v3, v17
	s_cbranch_scc1 .LBB6_1413
	s_branch .LBB6_1416
.LBB6_1414:                             ;   in Loop: Header=BB6_1374 Depth=1
	s_mov_b64 s[16:17], -1
	s_branch .LBB6_1417
.LBB6_1415:                             ;   in Loop: Header=BB6_1374 Depth=1
	v_mov_b32_e32 v16, 0
	v_mov_b32_e32 v17, 0
.LBB6_1416:                             ;   in Loop: Header=BB6_1374 Depth=1
	s_mov_b64 s[16:17], 0
	s_mov_b64 s[4:5], s[14:15]
.LBB6_1417:                             ;   in Loop: Header=BB6_1374 Depth=1
	s_andn2_b64 vcc, exec, s[16:17]
	s_mov_b32 s18, 0
	s_cbranch_vccnz .LBB6_1419
; %bb.1418:                             ;   in Loop: Header=BB6_1374 Depth=1
	global_load_dwordx2 v[16:17], v26, s[14:15]
	s_add_i32 s18, s19, -8
.LBB6_1419:                             ;   in Loop: Header=BB6_1374 Depth=1
	s_add_u32 s14, s4, 8
	s_addc_u32 s15, s5, 0
	s_cmp_gt_u32 s18, 7
	s_cbranch_scc1 .LBB6_1423
; %bb.1420:                             ;   in Loop: Header=BB6_1374 Depth=1
	s_cmp_eq_u32 s18, 0
	s_cbranch_scc1 .LBB6_1424
; %bb.1421:                             ;   in Loop: Header=BB6_1374 Depth=1
	v_mov_b32_e32 v18, 0
	s_mov_b64 s[14:15], 0
	v_mov_b32_e32 v19, 0
	s_mov_b64 s[16:17], 0
.LBB6_1422:                             ;   Parent Loop BB6_1374 Depth=1
                                        ; =>  This Inner Loop Header: Depth=2
	s_add_u32 s20, s4, s16
	s_addc_u32 s21, s5, s17
	global_load_ubyte v2, v26, s[20:21]
	s_add_u32 s16, s16, 1
	s_addc_u32 s17, s17, 0
	s_waitcnt vmcnt(0)
	v_and_b32_e32 v25, 0xffff, v2
	v_lshlrev_b64 v[2:3], s14, v[25:26]
	s_add_u32 s14, s14, 8
	s_addc_u32 s15, s15, 0
	v_or_b32_e32 v18, v2, v18
	s_cmp_lg_u32 s18, s16
	v_or_b32_e32 v19, v3, v19
	s_cbranch_scc1 .LBB6_1422
	s_branch .LBB6_1425
.LBB6_1423:                             ;   in Loop: Header=BB6_1374 Depth=1
	s_mov_b64 s[16:17], -1
                                        ; implicit-def: $vgpr18_vgpr19
	s_branch .LBB6_1426
.LBB6_1424:                             ;   in Loop: Header=BB6_1374 Depth=1
	v_mov_b32_e32 v18, 0
	v_mov_b32_e32 v19, 0
.LBB6_1425:                             ;   in Loop: Header=BB6_1374 Depth=1
	s_mov_b64 s[16:17], 0
	s_mov_b64 s[14:15], s[4:5]
.LBB6_1426:                             ;   in Loop: Header=BB6_1374 Depth=1
	s_andn2_b64 vcc, exec, s[16:17]
	s_mov_b32 s19, 0
	s_cbranch_vccnz .LBB6_1428
; %bb.1427:                             ;   in Loop: Header=BB6_1374 Depth=1
	global_load_dwordx2 v[18:19], v26, s[4:5]
	s_add_i32 s19, s18, -8
.LBB6_1428:                             ;   in Loop: Header=BB6_1374 Depth=1
	s_cmp_gt_u32 s19, 7
	s_cbranch_scc1 .LBB6_1432
; %bb.1429:                             ;   in Loop: Header=BB6_1374 Depth=1
	s_cmp_eq_u32 s19, 0
	s_cbranch_scc1 .LBB6_1433
; %bb.1430:                             ;   in Loop: Header=BB6_1374 Depth=1
	v_mov_b32_e32 v20, 0
	s_mov_b64 s[4:5], 0
	v_mov_b32_e32 v21, 0
	s_mov_b64 s[16:17], s[14:15]
.LBB6_1431:                             ;   Parent Loop BB6_1374 Depth=1
                                        ; =>  This Inner Loop Header: Depth=2
	global_load_ubyte v2, v26, s[16:17]
	s_add_i32 s19, s19, -1
	s_waitcnt vmcnt(0)
	v_and_b32_e32 v25, 0xffff, v2
	v_lshlrev_b64 v[2:3], s4, v[25:26]
	s_add_u32 s4, s4, 8
	s_addc_u32 s5, s5, 0
	s_add_u32 s16, s16, 1
	s_addc_u32 s17, s17, 0
	v_or_b32_e32 v20, v2, v20
	s_cmp_lg_u32 s19, 0
	v_or_b32_e32 v21, v3, v21
	s_cbranch_scc1 .LBB6_1431
	s_branch .LBB6_1434
.LBB6_1432:                             ;   in Loop: Header=BB6_1374 Depth=1
	s_mov_b64 s[4:5], -1
	s_branch .LBB6_1435
.LBB6_1433:                             ;   in Loop: Header=BB6_1374 Depth=1
	v_mov_b32_e32 v20, 0
	v_mov_b32_e32 v21, 0
.LBB6_1434:                             ;   in Loop: Header=BB6_1374 Depth=1
	s_mov_b64 s[4:5], 0
.LBB6_1435:                             ;   in Loop: Header=BB6_1374 Depth=1
	s_andn2_b64 vcc, exec, s[4:5]
	s_cbranch_vccnz .LBB6_1437
; %bb.1436:                             ;   in Loop: Header=BB6_1374 Depth=1
	global_load_dwordx2 v[20:21], v26, s[14:15]
.LBB6_1437:                             ;   in Loop: Header=BB6_1374 Depth=1
	v_readfirstlane_b32 s4, v30
	v_mov_b32_e32 v2, 0
	v_mov_b32_e32 v3, 0
	v_cmp_eq_u32_e64 s[4:5], s4, v30
	s_and_saveexec_b64 s[14:15], s[4:5]
	s_cbranch_execz .LBB6_1443
; %bb.1438:                             ;   in Loop: Header=BB6_1374 Depth=1
	global_load_dwordx2 v[24:25], v26, s[6:7] offset:24 glc
	s_waitcnt vmcnt(0)
	buffer_wbinvl1_vol
	global_load_dwordx2 v[2:3], v26, s[6:7] offset:40
	global_load_dwordx2 v[22:23], v26, s[6:7]
	s_waitcnt vmcnt(1)
	v_and_b32_e32 v2, v2, v24
	v_and_b32_e32 v3, v3, v25
	v_mul_lo_u32 v3, v3, 24
	v_mul_hi_u32 v27, v2, 24
	v_mul_lo_u32 v2, v2, 24
	v_add_u32_e32 v3, v27, v3
	s_waitcnt vmcnt(0)
	v_add_co_u32_e32 v2, vcc, v22, v2
	v_addc_co_u32_e32 v3, vcc, v23, v3, vcc
	global_load_dwordx2 v[22:23], v[2:3], off glc
	s_waitcnt vmcnt(0)
	global_atomic_cmpswap_x2 v[2:3], v26, v[22:25], s[6:7] offset:24 glc
	s_waitcnt vmcnt(0)
	buffer_wbinvl1_vol
	v_cmp_ne_u64_e32 vcc, v[2:3], v[24:25]
	s_and_saveexec_b64 s[16:17], vcc
	s_cbranch_execz .LBB6_1442
; %bb.1439:                             ;   in Loop: Header=BB6_1374 Depth=1
	s_mov_b64 s[18:19], 0
.LBB6_1440:                             ;   Parent Loop BB6_1374 Depth=1
                                        ; =>  This Inner Loop Header: Depth=2
	s_sleep 1
	global_load_dwordx2 v[22:23], v26, s[6:7] offset:40
	global_load_dwordx2 v[27:28], v26, s[6:7]
	v_mov_b32_e32 v25, v3
	v_mov_b32_e32 v24, v2
	s_waitcnt vmcnt(1)
	v_and_b32_e32 v2, v22, v24
	s_waitcnt vmcnt(0)
	v_mad_u64_u32 v[2:3], s[20:21], v2, 24, v[27:28]
	v_and_b32_e32 v22, v23, v25
	v_mad_u64_u32 v[22:23], s[20:21], v22, 24, v[3:4]
	v_mov_b32_e32 v3, v22
	global_load_dwordx2 v[22:23], v[2:3], off glc
	s_waitcnt vmcnt(0)
	global_atomic_cmpswap_x2 v[2:3], v26, v[22:25], s[6:7] offset:24 glc
	s_waitcnt vmcnt(0)
	buffer_wbinvl1_vol
	v_cmp_eq_u64_e32 vcc, v[2:3], v[24:25]
	s_or_b64 s[18:19], vcc, s[18:19]
	s_andn2_b64 exec, exec, s[18:19]
	s_cbranch_execnz .LBB6_1440
; %bb.1441:                             ;   in Loop: Header=BB6_1374 Depth=1
	s_or_b64 exec, exec, s[18:19]
.LBB6_1442:                             ;   in Loop: Header=BB6_1374 Depth=1
	s_or_b64 exec, exec, s[16:17]
.LBB6_1443:                             ;   in Loop: Header=BB6_1374 Depth=1
	s_or_b64 exec, exec, s[14:15]
	global_load_dwordx2 v[27:28], v26, s[6:7] offset:40
	global_load_dwordx4 v[22:25], v26, s[6:7]
	v_readfirstlane_b32 s15, v3
	v_readfirstlane_b32 s14, v2
	s_mov_b64 s[16:17], exec
	s_waitcnt vmcnt(1)
	v_readfirstlane_b32 s18, v27
	v_readfirstlane_b32 s19, v28
	s_and_b64 s[18:19], s[18:19], s[14:15]
	s_mul_i32 s20, s19, 24
	s_mul_hi_u32 s21, s18, 24
	s_mul_i32 s22, s18, 24
	s_add_i32 s20, s21, s20
	v_mov_b32_e32 v2, s20
	s_waitcnt vmcnt(0)
	v_add_co_u32_e32 v27, vcc, s22, v22
	v_addc_co_u32_e32 v28, vcc, v23, v2, vcc
	s_and_saveexec_b64 s[20:21], s[4:5]
	s_cbranch_execz .LBB6_1445
; %bb.1444:                             ;   in Loop: Header=BB6_1374 Depth=1
	v_mov_b32_e32 v2, s16
	v_mov_b32_e32 v3, s17
	global_store_dwordx4 v[27:28], v[2:5], off offset:8
.LBB6_1445:                             ;   in Loop: Header=BB6_1374 Depth=1
	s_or_b64 exec, exec, s[20:21]
	s_lshl_b64 s[16:17], s[18:19], 12
	v_cmp_gt_u64_e64 s[18:19], s[10:11], 56
	v_mov_b32_e32 v2, s17
	v_add_co_u32_e32 v24, vcc, s16, v24
	s_and_b64 s[16:17], s[18:19], exec
	s_cselect_b32 s16, 0, 2
	s_lshl_b32 s17, s12, 2
	v_addc_co_u32_e32 v31, vcc, v25, v2, vcc
	s_add_i32 s17, s17, 28
	v_and_b32_e32 v2, 0xffffff1f, v6
	s_and_b32 s17, s17, 0x1e0
	v_or_b32_e32 v2, s16, v2
	v_or_b32_e32 v6, s17, v2
	v_readfirstlane_b32 s16, v24
	v_readfirstlane_b32 s17, v31
	s_nop 4
	global_store_dwordx4 v29, v[6:9], s[16:17]
	global_store_dwordx4 v29, v[10:13], s[16:17] offset:16
	global_store_dwordx4 v29, v[14:17], s[16:17] offset:32
	;; [unrolled: 1-line block ×3, first 2 shown]
	s_and_saveexec_b64 s[16:17], s[4:5]
	s_cbranch_execz .LBB6_1453
; %bb.1446:                             ;   in Loop: Header=BB6_1374 Depth=1
	global_load_dwordx2 v[10:11], v26, s[6:7] offset:32 glc
	global_load_dwordx2 v[2:3], v26, s[6:7] offset:40
	v_mov_b32_e32 v8, s14
	v_mov_b32_e32 v9, s15
	s_waitcnt vmcnt(0)
	v_readfirstlane_b32 s18, v2
	v_readfirstlane_b32 s19, v3
	s_and_b64 s[18:19], s[18:19], s[14:15]
	s_mul_i32 s19, s19, 24
	s_mul_hi_u32 s20, s18, 24
	s_mul_i32 s18, s18, 24
	s_add_i32 s19, s20, s19
	v_mov_b32_e32 v3, s19
	v_add_co_u32_e32 v2, vcc, s18, v22
	v_addc_co_u32_e32 v3, vcc, v23, v3, vcc
	global_store_dwordx2 v[2:3], v[10:11], off
	s_waitcnt vmcnt(0)
	global_atomic_cmpswap_x2 v[8:9], v26, v[8:11], s[6:7] offset:32 glc
	s_waitcnt vmcnt(0)
	v_cmp_ne_u64_e32 vcc, v[8:9], v[10:11]
	s_and_saveexec_b64 s[18:19], vcc
	s_cbranch_execz .LBB6_1449
; %bb.1447:                             ;   in Loop: Header=BB6_1374 Depth=1
	s_mov_b64 s[20:21], 0
.LBB6_1448:                             ;   Parent Loop BB6_1374 Depth=1
                                        ; =>  This Inner Loop Header: Depth=2
	s_sleep 1
	global_store_dwordx2 v[2:3], v[8:9], off
	v_mov_b32_e32 v6, s14
	v_mov_b32_e32 v7, s15
	s_waitcnt vmcnt(0)
	global_atomic_cmpswap_x2 v[6:7], v26, v[6:9], s[6:7] offset:32 glc
	s_waitcnt vmcnt(0)
	v_cmp_eq_u64_e32 vcc, v[6:7], v[8:9]
	v_mov_b32_e32 v9, v7
	s_or_b64 s[20:21], vcc, s[20:21]
	v_mov_b32_e32 v8, v6
	s_andn2_b64 exec, exec, s[20:21]
	s_cbranch_execnz .LBB6_1448
.LBB6_1449:                             ;   in Loop: Header=BB6_1374 Depth=1
	s_or_b64 exec, exec, s[18:19]
	global_load_dwordx2 v[2:3], v26, s[6:7] offset:16
	s_mov_b64 s[20:21], exec
	v_mbcnt_lo_u32_b32 v6, s20, 0
	v_mbcnt_hi_u32_b32 v6, s21, v6
	v_cmp_eq_u32_e32 vcc, 0, v6
	s_and_saveexec_b64 s[18:19], vcc
	s_cbranch_execz .LBB6_1451
; %bb.1450:                             ;   in Loop: Header=BB6_1374 Depth=1
	s_bcnt1_i32_b64 s20, s[20:21]
	v_mov_b32_e32 v25, s20
	s_waitcnt vmcnt(0)
	global_atomic_add_x2 v[2:3], v[25:26], off offset:8
.LBB6_1451:                             ;   in Loop: Header=BB6_1374 Depth=1
	s_or_b64 exec, exec, s[18:19]
	s_waitcnt vmcnt(0)
	global_load_dwordx2 v[6:7], v[2:3], off offset:16
	s_waitcnt vmcnt(0)
	v_cmp_eq_u64_e32 vcc, 0, v[6:7]
	s_cbranch_vccnz .LBB6_1453
; %bb.1452:                             ;   in Loop: Header=BB6_1374 Depth=1
	global_load_dword v25, v[2:3], off offset:24
	s_waitcnt vmcnt(0)
	v_readfirstlane_b32 s18, v25
	s_and_b32 m0, s18, 0xffffff
	global_store_dwordx2 v[6:7], v[25:26], off
	s_sendmsg sendmsg(MSG_INTERRUPT)
.LBB6_1453:                             ;   in Loop: Header=BB6_1374 Depth=1
	s_or_b64 exec, exec, s[16:17]
	v_add_co_u32_e32 v2, vcc, v24, v29
	v_addc_co_u32_e32 v3, vcc, 0, v31, vcc
	s_branch .LBB6_1457
.LBB6_1454:                             ;   in Loop: Header=BB6_1457 Depth=2
	s_or_b64 exec, exec, s[16:17]
	v_readfirstlane_b32 s16, v6
	s_cmp_eq_u32 s16, 0
	s_cbranch_scc1 .LBB6_1456
; %bb.1455:                             ;   in Loop: Header=BB6_1457 Depth=2
	s_sleep 1
	s_cbranch_execnz .LBB6_1457
	s_branch .LBB6_1459
.LBB6_1456:                             ;   in Loop: Header=BB6_1374 Depth=1
	s_branch .LBB6_1459
.LBB6_1457:                             ;   Parent Loop BB6_1374 Depth=1
                                        ; =>  This Inner Loop Header: Depth=2
	v_mov_b32_e32 v6, 1
	s_and_saveexec_b64 s[16:17], s[4:5]
	s_cbranch_execz .LBB6_1454
; %bb.1458:                             ;   in Loop: Header=BB6_1457 Depth=2
	global_load_dword v6, v[27:28], off offset:20 glc
	s_waitcnt vmcnt(0)
	buffer_wbinvl1_vol
	v_and_b32_e32 v6, 1, v6
	s_branch .LBB6_1454
.LBB6_1459:                             ;   in Loop: Header=BB6_1374 Depth=1
	global_load_dwordx4 v[6:9], v[2:3], off
	s_and_saveexec_b64 s[16:17], s[4:5]
	s_cbranch_execz .LBB6_1373
; %bb.1460:                             ;   in Loop: Header=BB6_1374 Depth=1
	global_load_dwordx2 v[2:3], v26, s[6:7] offset:40
	global_load_dwordx2 v[12:13], v26, s[6:7] offset:24 glc
	global_load_dwordx2 v[8:9], v26, s[6:7]
	s_waitcnt vmcnt(2)
	v_readfirstlane_b32 s18, v2
	v_readfirstlane_b32 s19, v3
	s_add_u32 s20, s18, 1
	s_addc_u32 s21, s19, 0
	s_add_u32 s4, s20, s14
	s_addc_u32 s5, s21, s15
	s_cmp_eq_u64 s[4:5], 0
	s_cselect_b32 s5, s21, s5
	s_cselect_b32 s4, s20, s4
	s_and_b64 s[14:15], s[4:5], s[18:19]
	s_mul_i32 s15, s15, 24
	s_mul_hi_u32 s18, s14, 24
	s_mul_i32 s14, s14, 24
	s_add_i32 s15, s18, s15
	v_mov_b32_e32 v3, s15
	s_waitcnt vmcnt(0)
	v_add_co_u32_e32 v2, vcc, s14, v8
	v_addc_co_u32_e32 v3, vcc, v9, v3, vcc
	v_mov_b32_e32 v10, s4
	global_store_dwordx2 v[2:3], v[12:13], off
	v_mov_b32_e32 v11, s5
	s_waitcnt vmcnt(0)
	global_atomic_cmpswap_x2 v[10:11], v26, v[10:13], s[6:7] offset:24 glc
	s_waitcnt vmcnt(0)
	v_cmp_ne_u64_e32 vcc, v[10:11], v[12:13]
	s_and_b64 exec, exec, vcc
	s_cbranch_execz .LBB6_1373
; %bb.1461:                             ;   in Loop: Header=BB6_1374 Depth=1
	s_mov_b64 s[14:15], 0
.LBB6_1462:                             ;   Parent Loop BB6_1374 Depth=1
                                        ; =>  This Inner Loop Header: Depth=2
	s_sleep 1
	global_store_dwordx2 v[2:3], v[10:11], off
	v_mov_b32_e32 v8, s4
	v_mov_b32_e32 v9, s5
	s_waitcnt vmcnt(0)
	global_atomic_cmpswap_x2 v[8:9], v26, v[8:11], s[6:7] offset:24 glc
	s_waitcnt vmcnt(0)
	v_cmp_eq_u64_e32 vcc, v[8:9], v[10:11]
	v_mov_b32_e32 v11, v9
	s_or_b64 s[14:15], vcc, s[14:15]
	v_mov_b32_e32 v10, v8
	s_andn2_b64 exec, exec, s[14:15]
	s_cbranch_execnz .LBB6_1462
	s_branch .LBB6_1373
.LBB6_1463:
	s_mov_b64 s[4:5], 0
	s_branch .LBB6_1465
.LBB6_1464:
	s_mov_b64 s[4:5], -1
.LBB6_1465:
	s_and_b64 vcc, exec, s[4:5]
	s_cbranch_vccz .LBB6_1492
; %bb.1466:
	v_readfirstlane_b32 s4, v30
	s_waitcnt vmcnt(0)
	v_mov_b32_e32 v8, 0
	v_mov_b32_e32 v9, 0
	v_cmp_eq_u32_e64 s[4:5], s4, v30
	s_and_saveexec_b64 s[8:9], s[4:5]
	s_cbranch_execz .LBB6_1472
; %bb.1467:
	v_mov_b32_e32 v2, 0
	global_load_dwordx2 v[5:6], v2, s[6:7] offset:24 glc
	s_waitcnt vmcnt(0)
	buffer_wbinvl1_vol
	global_load_dwordx2 v[3:4], v2, s[6:7] offset:40
	global_load_dwordx2 v[7:8], v2, s[6:7]
	s_waitcnt vmcnt(1)
	v_and_b32_e32 v3, v3, v5
	v_and_b32_e32 v4, v4, v6
	v_mul_lo_u32 v4, v4, 24
	v_mul_hi_u32 v9, v3, 24
	v_mul_lo_u32 v3, v3, 24
	v_add_u32_e32 v4, v9, v4
	s_waitcnt vmcnt(0)
	v_add_co_u32_e32 v3, vcc, v7, v3
	v_addc_co_u32_e32 v4, vcc, v8, v4, vcc
	global_load_dwordx2 v[3:4], v[3:4], off glc
	s_waitcnt vmcnt(0)
	global_atomic_cmpswap_x2 v[8:9], v2, v[3:6], s[6:7] offset:24 glc
	s_waitcnt vmcnt(0)
	buffer_wbinvl1_vol
	v_cmp_ne_u64_e32 vcc, v[8:9], v[5:6]
	s_and_saveexec_b64 s[10:11], vcc
	s_cbranch_execz .LBB6_1471
; %bb.1468:
	s_mov_b64 s[12:13], 0
.LBB6_1469:                             ; =>This Inner Loop Header: Depth=1
	s_sleep 1
	global_load_dwordx2 v[3:4], v2, s[6:7] offset:40
	global_load_dwordx2 v[10:11], v2, s[6:7]
	v_mov_b32_e32 v5, v8
	v_mov_b32_e32 v6, v9
	s_waitcnt vmcnt(1)
	v_and_b32_e32 v3, v3, v5
	s_waitcnt vmcnt(0)
	v_mad_u64_u32 v[7:8], s[14:15], v3, 24, v[10:11]
	v_and_b32_e32 v4, v4, v6
	v_mov_b32_e32 v3, v8
	v_mad_u64_u32 v[3:4], s[14:15], v4, 24, v[3:4]
	v_mov_b32_e32 v8, v3
	global_load_dwordx2 v[3:4], v[7:8], off glc
	s_waitcnt vmcnt(0)
	global_atomic_cmpswap_x2 v[8:9], v2, v[3:6], s[6:7] offset:24 glc
	s_waitcnt vmcnt(0)
	buffer_wbinvl1_vol
	v_cmp_eq_u64_e32 vcc, v[8:9], v[5:6]
	s_or_b64 s[12:13], vcc, s[12:13]
	s_andn2_b64 exec, exec, s[12:13]
	s_cbranch_execnz .LBB6_1469
; %bb.1470:
	s_or_b64 exec, exec, s[12:13]
.LBB6_1471:
	s_or_b64 exec, exec, s[10:11]
.LBB6_1472:
	s_or_b64 exec, exec, s[8:9]
	v_mov_b32_e32 v2, 0
	global_load_dwordx2 v[10:11], v2, s[6:7] offset:40
	global_load_dwordx4 v[4:7], v2, s[6:7]
	v_readfirstlane_b32 s9, v9
	v_readfirstlane_b32 s8, v8
	s_mov_b64 s[10:11], exec
	s_waitcnt vmcnt(1)
	v_readfirstlane_b32 s12, v10
	v_readfirstlane_b32 s13, v11
	s_and_b64 s[12:13], s[12:13], s[8:9]
	s_mul_i32 s14, s13, 24
	s_mul_hi_u32 s15, s12, 24
	s_mul_i32 s16, s12, 24
	s_add_i32 s14, s15, s14
	v_mov_b32_e32 v3, s14
	s_waitcnt vmcnt(0)
	v_add_co_u32_e32 v8, vcc, s16, v4
	v_addc_co_u32_e32 v9, vcc, v5, v3, vcc
	s_and_saveexec_b64 s[14:15], s[4:5]
	s_cbranch_execz .LBB6_1474
; %bb.1473:
	v_mov_b32_e32 v10, s10
	v_mov_b32_e32 v11, s11
	;; [unrolled: 1-line block ×4, first 2 shown]
	global_store_dwordx4 v[8:9], v[10:13], off offset:8
.LBB6_1474:
	s_or_b64 exec, exec, s[14:15]
	s_lshl_b64 s[10:11], s[12:13], 12
	v_mov_b32_e32 v3, s11
	v_add_co_u32_e32 v6, vcc, s10, v6
	v_addc_co_u32_e32 v7, vcc, v7, v3, vcc
	s_movk_i32 s10, 0xff1d
	v_and_or_b32 v0, v0, s10, 34
	s_mov_b32 s12, 0
	v_mov_b32_e32 v3, v2
	v_readfirstlane_b32 s10, v6
	v_readfirstlane_b32 s11, v7
	s_mov_b32 s13, s12
	s_mov_b32 s14, s12
	;; [unrolled: 1-line block ×3, first 2 shown]
	s_nop 1
	global_store_dwordx4 v29, v[0:3], s[10:11]
	s_nop 0
	v_mov_b32_e32 v0, s12
	v_mov_b32_e32 v1, s13
	;; [unrolled: 1-line block ×4, first 2 shown]
	global_store_dwordx4 v29, v[0:3], s[10:11] offset:16
	global_store_dwordx4 v29, v[0:3], s[10:11] offset:32
	;; [unrolled: 1-line block ×3, first 2 shown]
	s_and_saveexec_b64 s[10:11], s[4:5]
	s_cbranch_execz .LBB6_1482
; %bb.1475:
	v_mov_b32_e32 v6, 0
	global_load_dwordx2 v[12:13], v6, s[6:7] offset:32 glc
	global_load_dwordx2 v[0:1], v6, s[6:7] offset:40
	v_mov_b32_e32 v10, s8
	v_mov_b32_e32 v11, s9
	s_waitcnt vmcnt(0)
	v_readfirstlane_b32 s12, v0
	v_readfirstlane_b32 s13, v1
	s_and_b64 s[12:13], s[12:13], s[8:9]
	s_mul_i32 s13, s13, 24
	s_mul_hi_u32 s14, s12, 24
	s_mul_i32 s12, s12, 24
	s_add_i32 s13, s14, s13
	v_mov_b32_e32 v0, s13
	v_add_co_u32_e32 v4, vcc, s12, v4
	v_addc_co_u32_e32 v5, vcc, v5, v0, vcc
	global_store_dwordx2 v[4:5], v[12:13], off
	s_waitcnt vmcnt(0)
	global_atomic_cmpswap_x2 v[2:3], v6, v[10:13], s[6:7] offset:32 glc
	s_waitcnt vmcnt(0)
	v_cmp_ne_u64_e32 vcc, v[2:3], v[12:13]
	s_and_saveexec_b64 s[12:13], vcc
	s_cbranch_execz .LBB6_1478
; %bb.1476:
	s_mov_b64 s[14:15], 0
.LBB6_1477:                             ; =>This Inner Loop Header: Depth=1
	s_sleep 1
	global_store_dwordx2 v[4:5], v[2:3], off
	v_mov_b32_e32 v0, s8
	v_mov_b32_e32 v1, s9
	s_waitcnt vmcnt(0)
	global_atomic_cmpswap_x2 v[0:1], v6, v[0:3], s[6:7] offset:32 glc
	s_waitcnt vmcnt(0)
	v_cmp_eq_u64_e32 vcc, v[0:1], v[2:3]
	v_mov_b32_e32 v3, v1
	s_or_b64 s[14:15], vcc, s[14:15]
	v_mov_b32_e32 v2, v0
	s_andn2_b64 exec, exec, s[14:15]
	s_cbranch_execnz .LBB6_1477
.LBB6_1478:
	s_or_b64 exec, exec, s[12:13]
	v_mov_b32_e32 v3, 0
	global_load_dwordx2 v[0:1], v3, s[6:7] offset:16
	s_mov_b64 s[12:13], exec
	v_mbcnt_lo_u32_b32 v2, s12, 0
	v_mbcnt_hi_u32_b32 v2, s13, v2
	v_cmp_eq_u32_e32 vcc, 0, v2
	s_and_saveexec_b64 s[14:15], vcc
	s_cbranch_execz .LBB6_1480
; %bb.1479:
	s_bcnt1_i32_b64 s12, s[12:13]
	v_mov_b32_e32 v2, s12
	s_waitcnt vmcnt(0)
	global_atomic_add_x2 v[0:1], v[2:3], off offset:8
.LBB6_1480:
	s_or_b64 exec, exec, s[14:15]
	s_waitcnt vmcnt(0)
	global_load_dwordx2 v[2:3], v[0:1], off offset:16
	s_waitcnt vmcnt(0)
	v_cmp_eq_u64_e32 vcc, 0, v[2:3]
	s_cbranch_vccnz .LBB6_1482
; %bb.1481:
	global_load_dword v0, v[0:1], off offset:24
	v_mov_b32_e32 v1, 0
	s_waitcnt vmcnt(0)
	v_readfirstlane_b32 s12, v0
	s_and_b32 m0, s12, 0xffffff
	global_store_dwordx2 v[2:3], v[0:1], off
	s_sendmsg sendmsg(MSG_INTERRUPT)
.LBB6_1482:
	s_or_b64 exec, exec, s[10:11]
	s_branch .LBB6_1486
.LBB6_1483:                             ;   in Loop: Header=BB6_1486 Depth=1
	s_or_b64 exec, exec, s[10:11]
	v_readfirstlane_b32 s10, v0
	s_cmp_eq_u32 s10, 0
	s_cbranch_scc1 .LBB6_1485
; %bb.1484:                             ;   in Loop: Header=BB6_1486 Depth=1
	s_sleep 1
	s_cbranch_execnz .LBB6_1486
	s_branch .LBB6_1488
.LBB6_1485:
	s_branch .LBB6_1488
.LBB6_1486:                             ; =>This Inner Loop Header: Depth=1
	v_mov_b32_e32 v0, 1
	s_and_saveexec_b64 s[10:11], s[4:5]
	s_cbranch_execz .LBB6_1483
; %bb.1487:                             ;   in Loop: Header=BB6_1486 Depth=1
	global_load_dword v0, v[8:9], off offset:20 glc
	s_waitcnt vmcnt(0)
	buffer_wbinvl1_vol
	v_and_b32_e32 v0, 1, v0
	s_branch .LBB6_1483
.LBB6_1488:
	s_and_saveexec_b64 s[10:11], s[4:5]
	s_cbranch_execz .LBB6_1491
; %bb.1489:
	v_mov_b32_e32 v6, 0
	global_load_dwordx2 v[0:1], v6, s[6:7] offset:40
	global_load_dwordx2 v[9:10], v6, s[6:7] offset:24 glc
	global_load_dwordx2 v[2:3], v6, s[6:7]
	s_waitcnt vmcnt(2)
	v_readfirstlane_b32 s12, v0
	v_readfirstlane_b32 s13, v1
	s_add_u32 s14, s12, 1
	s_addc_u32 s15, s13, 0
	s_add_u32 s4, s14, s8
	s_addc_u32 s5, s15, s9
	s_cmp_eq_u64 s[4:5], 0
	s_cselect_b32 s5, s15, s5
	s_cselect_b32 s4, s14, s4
	s_and_b64 s[8:9], s[4:5], s[12:13]
	s_mul_i32 s9, s9, 24
	s_mul_hi_u32 s12, s8, 24
	s_mul_i32 s8, s8, 24
	s_add_i32 s9, s12, s9
	v_mov_b32_e32 v0, s9
	s_waitcnt vmcnt(0)
	v_add_co_u32_e32 v4, vcc, s8, v2
	v_addc_co_u32_e32 v5, vcc, v3, v0, vcc
	v_mov_b32_e32 v7, s4
	global_store_dwordx2 v[4:5], v[9:10], off
	v_mov_b32_e32 v8, s5
	s_waitcnt vmcnt(0)
	global_atomic_cmpswap_x2 v[2:3], v6, v[7:10], s[6:7] offset:24 glc
	s_mov_b64 s[8:9], 0
	s_waitcnt vmcnt(0)
	v_cmp_ne_u64_e32 vcc, v[2:3], v[9:10]
	s_and_b64 exec, exec, vcc
	s_cbranch_execz .LBB6_1491
.LBB6_1490:                             ; =>This Inner Loop Header: Depth=1
	s_sleep 1
	global_store_dwordx2 v[4:5], v[2:3], off
	v_mov_b32_e32 v0, s4
	v_mov_b32_e32 v1, s5
	s_waitcnt vmcnt(0)
	global_atomic_cmpswap_x2 v[0:1], v6, v[0:3], s[6:7] offset:24 glc
	s_waitcnt vmcnt(0)
	v_cmp_eq_u64_e32 vcc, v[0:1], v[2:3]
	v_mov_b32_e32 v3, v1
	s_or_b64 s[8:9], vcc, s[8:9]
	v_mov_b32_e32 v2, v0
	s_andn2_b64 exec, exec, s[8:9]
	s_cbranch_execnz .LBB6_1490
.LBB6_1491:
	s_or_b64 exec, exec, s[10:11]
.LBB6_1492:
	s_getpc_b64 s[4:5]
	s_add_u32 s4, s4, .str.29@rel32@lo+4
	s_addc_u32 s5, s5, .str.29@rel32@hi+12
	s_getpc_b64 s[6:7]
	s_add_u32 s6, s6, .str.19@rel32@lo+4
	s_addc_u32 s7, s7, .str.19@rel32@hi+12
	s_getpc_b64 s[10:11]
	s_add_u32 s10, s10, __PRETTY_FUNCTION__._ZN7VecsMemIjLi8192EE5fetchEi@rel32@lo+4
	s_addc_u32 s11, s11, __PRETTY_FUNCTION__._ZN7VecsMemIjLi8192EE5fetchEi@rel32@hi+12
	s_getpc_b64 s[12:13]
	s_add_u32 s12, s12, __assert_fail@rel32@lo+4
	s_addc_u32 s13, s13, __assert_fail@rel32@hi+12
	s_mov_b64 s[8:9], s[64:65]
	s_waitcnt vmcnt(0)
	v_mov_b32_e32 v0, s4
	v_mov_b32_e32 v1, s5
	;; [unrolled: 1-line block ×7, first 2 shown]
	s_swappc_b64 s[30:31], s[12:13]
	s_or_b64 s[28:29], s[28:29], exec
.LBB6_1493:
	s_or_b64 exec, exec, s[40:41]
	v_readlane_b32 s4, v62, 6
	v_readlane_b32 s5, v62, 7
	s_andn2_b64 s[4:5], s[4:5], exec
	s_and_b64 s[6:7], s[28:29], exec
	s_or_b64 s[28:29], s[4:5], s[6:7]
	v_readlane_b32 s4, v62, 42
	s_and_b64 s[26:27], s[26:27], exec
	v_readlane_b32 s5, v62, 43
.LBB6_1494:
	s_andn2_saveexec_b64 s[40:41], s[4:5]
	s_cbranch_execz .LBB6_1642
; %bb.1495:
	s_load_dwordx2 s[6:7], s[64:65], 0x50
	v_mbcnt_lo_u32_b32 v0, -1, 0
	v_mbcnt_hi_u32_b32 v30, -1, v0
	v_readfirstlane_b32 s4, v30
	v_mov_b32_e32 v5, 0
	v_mov_b32_e32 v6, 0
	v_cmp_eq_u32_e64 s[4:5], s4, v30
	s_and_saveexec_b64 s[8:9], s[4:5]
	s_cbranch_execz .LBB6_1501
; %bb.1496:
	v_mov_b32_e32 v0, 0
	s_waitcnt lgkmcnt(0)
	global_load_dwordx2 v[3:4], v0, s[6:7] offset:24 glc
	s_waitcnt vmcnt(0)
	buffer_wbinvl1_vol
	global_load_dwordx2 v[1:2], v0, s[6:7] offset:40
	global_load_dwordx2 v[5:6], v0, s[6:7]
	s_waitcnt vmcnt(1)
	v_and_b32_e32 v1, v1, v3
	v_and_b32_e32 v2, v2, v4
	v_mul_lo_u32 v2, v2, 24
	v_mul_hi_u32 v7, v1, 24
	v_mul_lo_u32 v1, v1, 24
	v_add_u32_e32 v2, v7, v2
	s_waitcnt vmcnt(0)
	v_add_co_u32_e32 v1, vcc, v5, v1
	v_addc_co_u32_e32 v2, vcc, v6, v2, vcc
	global_load_dwordx2 v[1:2], v[1:2], off glc
	s_waitcnt vmcnt(0)
	global_atomic_cmpswap_x2 v[5:6], v0, v[1:4], s[6:7] offset:24 glc
	s_waitcnt vmcnt(0)
	buffer_wbinvl1_vol
	v_cmp_ne_u64_e32 vcc, v[5:6], v[3:4]
	s_and_saveexec_b64 s[10:11], vcc
	s_cbranch_execz .LBB6_1500
; %bb.1497:
	s_mov_b64 s[12:13], 0
.LBB6_1498:                             ; =>This Inner Loop Header: Depth=1
	s_sleep 1
	global_load_dwordx2 v[1:2], v0, s[6:7] offset:40
	global_load_dwordx2 v[7:8], v0, s[6:7]
	v_mov_b32_e32 v3, v5
	v_mov_b32_e32 v4, v6
	s_waitcnt vmcnt(1)
	v_and_b32_e32 v1, v1, v3
	s_waitcnt vmcnt(0)
	v_mad_u64_u32 v[5:6], s[14:15], v1, 24, v[7:8]
	v_and_b32_e32 v2, v2, v4
	v_mov_b32_e32 v1, v6
	v_mad_u64_u32 v[1:2], s[14:15], v2, 24, v[1:2]
	v_mov_b32_e32 v6, v1
	global_load_dwordx2 v[1:2], v[5:6], off glc
	s_waitcnt vmcnt(0)
	global_atomic_cmpswap_x2 v[5:6], v0, v[1:4], s[6:7] offset:24 glc
	s_waitcnt vmcnt(0)
	buffer_wbinvl1_vol
	v_cmp_eq_u64_e32 vcc, v[5:6], v[3:4]
	s_or_b64 s[12:13], vcc, s[12:13]
	s_andn2_b64 exec, exec, s[12:13]
	s_cbranch_execnz .LBB6_1498
; %bb.1499:
	s_or_b64 exec, exec, s[12:13]
.LBB6_1500:
	s_or_b64 exec, exec, s[10:11]
.LBB6_1501:
	s_or_b64 exec, exec, s[8:9]
	v_mov_b32_e32 v4, 0
	s_waitcnt lgkmcnt(0)
	global_load_dwordx2 v[7:8], v4, s[6:7] offset:40
	global_load_dwordx4 v[0:3], v4, s[6:7]
	v_readfirstlane_b32 s9, v6
	v_readfirstlane_b32 s8, v5
	s_mov_b64 s[10:11], exec
	s_waitcnt vmcnt(0)
	v_readfirstlane_b32 s12, v7
	v_readfirstlane_b32 s13, v8
	s_and_b64 s[12:13], s[12:13], s[8:9]
	s_mul_i32 s14, s13, 24
	s_mul_hi_u32 s15, s12, 24
	s_mul_i32 s16, s12, 24
	s_add_i32 s14, s15, s14
	v_mov_b32_e32 v5, s14
	v_add_co_u32_e32 v7, vcc, s16, v0
	v_addc_co_u32_e32 v8, vcc, v1, v5, vcc
	s_and_saveexec_b64 s[14:15], s[4:5]
	s_cbranch_execz .LBB6_1503
; %bb.1502:
	v_mov_b32_e32 v9, s10
	v_mov_b32_e32 v10, s11
	;; [unrolled: 1-line block ×4, first 2 shown]
	global_store_dwordx4 v[7:8], v[9:12], off offset:8
.LBB6_1503:
	s_or_b64 exec, exec, s[14:15]
	s_lshl_b64 s[10:11], s[12:13], 12
	v_mov_b32_e32 v5, s11
	v_add_co_u32_e32 v2, vcc, s10, v2
	v_addc_co_u32_e32 v11, vcc, v3, v5, vcc
	v_lshlrev_b32_e32 v29, 6, v30
	s_mov_b32 s12, 0
	v_mov_b32_e32 v3, 33
	v_mov_b32_e32 v5, v4
	;; [unrolled: 1-line block ×3, first 2 shown]
	v_readfirstlane_b32 s10, v2
	v_readfirstlane_b32 s11, v11
	v_add_co_u32_e32 v9, vcc, v2, v29
	s_mov_b32 s13, s12
	s_mov_b32 s14, s12
	;; [unrolled: 1-line block ×3, first 2 shown]
	s_nop 0
	global_store_dwordx4 v29, v[3:6], s[10:11]
	v_mov_b32_e32 v2, s12
	v_addc_co_u32_e32 v10, vcc, 0, v11, vcc
	v_mov_b32_e32 v3, s13
	v_mov_b32_e32 v4, s14
	;; [unrolled: 1-line block ×3, first 2 shown]
	global_store_dwordx4 v29, v[2:5], s[10:11] offset:16
	global_store_dwordx4 v29, v[2:5], s[10:11] offset:32
	;; [unrolled: 1-line block ×3, first 2 shown]
	s_and_saveexec_b64 s[10:11], s[4:5]
	s_cbranch_execz .LBB6_1511
; %bb.1504:
	v_mov_b32_e32 v6, 0
	global_load_dwordx2 v[13:14], v6, s[6:7] offset:32 glc
	global_load_dwordx2 v[2:3], v6, s[6:7] offset:40
	v_mov_b32_e32 v11, s8
	v_mov_b32_e32 v12, s9
	s_waitcnt vmcnt(0)
	v_and_b32_e32 v2, s8, v2
	v_and_b32_e32 v3, s9, v3
	v_mul_lo_u32 v3, v3, 24
	v_mul_hi_u32 v4, v2, 24
	v_mul_lo_u32 v2, v2, 24
	v_add_u32_e32 v3, v4, v3
	v_add_co_u32_e32 v4, vcc, v0, v2
	v_addc_co_u32_e32 v5, vcc, v1, v3, vcc
	global_store_dwordx2 v[4:5], v[13:14], off
	s_waitcnt vmcnt(0)
	global_atomic_cmpswap_x2 v[2:3], v6, v[11:14], s[6:7] offset:32 glc
	s_waitcnt vmcnt(0)
	v_cmp_ne_u64_e32 vcc, v[2:3], v[13:14]
	s_and_saveexec_b64 s[12:13], vcc
	s_cbranch_execz .LBB6_1507
; %bb.1505:
	s_mov_b64 s[14:15], 0
.LBB6_1506:                             ; =>This Inner Loop Header: Depth=1
	s_sleep 1
	global_store_dwordx2 v[4:5], v[2:3], off
	v_mov_b32_e32 v0, s8
	v_mov_b32_e32 v1, s9
	s_waitcnt vmcnt(0)
	global_atomic_cmpswap_x2 v[0:1], v6, v[0:3], s[6:7] offset:32 glc
	s_waitcnt vmcnt(0)
	v_cmp_eq_u64_e32 vcc, v[0:1], v[2:3]
	v_mov_b32_e32 v3, v1
	s_or_b64 s[14:15], vcc, s[14:15]
	v_mov_b32_e32 v2, v0
	s_andn2_b64 exec, exec, s[14:15]
	s_cbranch_execnz .LBB6_1506
.LBB6_1507:
	s_or_b64 exec, exec, s[12:13]
	v_mov_b32_e32 v3, 0
	global_load_dwordx2 v[0:1], v3, s[6:7] offset:16
	s_mov_b64 s[12:13], exec
	v_mbcnt_lo_u32_b32 v2, s12, 0
	v_mbcnt_hi_u32_b32 v2, s13, v2
	v_cmp_eq_u32_e32 vcc, 0, v2
	s_and_saveexec_b64 s[14:15], vcc
	s_cbranch_execz .LBB6_1509
; %bb.1508:
	s_bcnt1_i32_b64 s12, s[12:13]
	v_mov_b32_e32 v2, s12
	s_waitcnt vmcnt(0)
	global_atomic_add_x2 v[0:1], v[2:3], off offset:8
.LBB6_1509:
	s_or_b64 exec, exec, s[14:15]
	s_waitcnt vmcnt(0)
	global_load_dwordx2 v[2:3], v[0:1], off offset:16
	s_waitcnt vmcnt(0)
	v_cmp_eq_u64_e32 vcc, 0, v[2:3]
	s_cbranch_vccnz .LBB6_1511
; %bb.1510:
	global_load_dword v0, v[0:1], off offset:24
	v_mov_b32_e32 v1, 0
	s_waitcnt vmcnt(0)
	v_readfirstlane_b32 s12, v0
	s_and_b32 m0, s12, 0xffffff
	global_store_dwordx2 v[2:3], v[0:1], off
	s_sendmsg sendmsg(MSG_INTERRUPT)
.LBB6_1511:
	s_or_b64 exec, exec, s[10:11]
	s_branch .LBB6_1515
.LBB6_1512:                             ;   in Loop: Header=BB6_1515 Depth=1
	s_or_b64 exec, exec, s[10:11]
	v_readfirstlane_b32 s10, v0
	s_cmp_eq_u32 s10, 0
	s_cbranch_scc1 .LBB6_1514
; %bb.1513:                             ;   in Loop: Header=BB6_1515 Depth=1
	s_sleep 1
	s_cbranch_execnz .LBB6_1515
	s_branch .LBB6_1517
.LBB6_1514:
	s_branch .LBB6_1517
.LBB6_1515:                             ; =>This Inner Loop Header: Depth=1
	v_mov_b32_e32 v0, 1
	s_and_saveexec_b64 s[10:11], s[4:5]
	s_cbranch_execz .LBB6_1512
; %bb.1516:                             ;   in Loop: Header=BB6_1515 Depth=1
	global_load_dword v0, v[7:8], off offset:20 glc
	s_waitcnt vmcnt(0)
	buffer_wbinvl1_vol
	v_and_b32_e32 v0, 1, v0
	s_branch .LBB6_1512
.LBB6_1517:
	global_load_dwordx2 v[0:1], v[9:10], off
	s_and_saveexec_b64 s[10:11], s[4:5]
	s_cbranch_execz .LBB6_1520
; %bb.1518:
	v_mov_b32_e32 v8, 0
	global_load_dwordx2 v[2:3], v8, s[6:7] offset:40
	global_load_dwordx2 v[11:12], v8, s[6:7] offset:24 glc
	global_load_dwordx2 v[4:5], v8, s[6:7]
	s_waitcnt vmcnt(2)
	v_readfirstlane_b32 s12, v2
	v_readfirstlane_b32 s13, v3
	s_add_u32 s14, s12, 1
	s_addc_u32 s15, s13, 0
	s_add_u32 s4, s14, s8
	s_addc_u32 s5, s15, s9
	s_cmp_eq_u64 s[4:5], 0
	s_cselect_b32 s5, s15, s5
	s_cselect_b32 s4, s14, s4
	s_and_b64 s[8:9], s[4:5], s[12:13]
	s_mul_i32 s9, s9, 24
	s_mul_hi_u32 s12, s8, 24
	s_mul_i32 s8, s8, 24
	s_add_i32 s9, s12, s9
	v_mov_b32_e32 v2, s9
	s_waitcnt vmcnt(0)
	v_add_co_u32_e32 v6, vcc, s8, v4
	v_addc_co_u32_e32 v7, vcc, v5, v2, vcc
	v_mov_b32_e32 v9, s4
	global_store_dwordx2 v[6:7], v[11:12], off
	v_mov_b32_e32 v10, s5
	s_waitcnt vmcnt(0)
	global_atomic_cmpswap_x2 v[4:5], v8, v[9:12], s[6:7] offset:24 glc
	s_mov_b64 s[8:9], 0
	s_waitcnt vmcnt(0)
	v_cmp_ne_u64_e32 vcc, v[4:5], v[11:12]
	s_and_b64 exec, exec, vcc
	s_cbranch_execz .LBB6_1520
.LBB6_1519:                             ; =>This Inner Loop Header: Depth=1
	s_sleep 1
	global_store_dwordx2 v[6:7], v[4:5], off
	v_mov_b32_e32 v2, s4
	v_mov_b32_e32 v3, s5
	s_waitcnt vmcnt(0)
	global_atomic_cmpswap_x2 v[2:3], v8, v[2:5], s[6:7] offset:24 glc
	s_waitcnt vmcnt(0)
	v_cmp_eq_u64_e32 vcc, v[2:3], v[4:5]
	v_mov_b32_e32 v5, v3
	s_or_b64 s[8:9], vcc, s[8:9]
	v_mov_b32_e32 v4, v2
	s_andn2_b64 exec, exec, s[8:9]
	s_cbranch_execnz .LBB6_1519
.LBB6_1520:
	s_or_b64 exec, exec, s[10:11]
	s_getpc_b64 s[8:9]
	s_add_u32 s8, s8, .str.28@rel32@lo+4
	s_addc_u32 s9, s9, .str.28@rel32@hi+12
	s_cmp_lg_u64 s[8:9], 0
	s_cbranch_scc0 .LBB6_1613
; %bb.1521:
	s_waitcnt vmcnt(0)
	v_and_b32_e32 v6, -3, v0
	v_mov_b32_e32 v7, v1
	s_mov_b64 s[10:11], 35
	v_mov_b32_e32 v26, 0
	v_mov_b32_e32 v4, 2
	;; [unrolled: 1-line block ×3, first 2 shown]
	s_branch .LBB6_1523
.LBB6_1522:                             ;   in Loop: Header=BB6_1523 Depth=1
	s_or_b64 exec, exec, s[16:17]
	s_sub_u32 s10, s10, s12
	s_subb_u32 s11, s11, s13
	s_add_u32 s8, s8, s12
	s_addc_u32 s9, s9, s13
	s_cmp_lg_u64 s[10:11], 0
	s_cbranch_scc0 .LBB6_1612
.LBB6_1523:                             ; =>This Loop Header: Depth=1
                                        ;     Child Loop BB6_1526 Depth 2
                                        ;     Child Loop BB6_1535 Depth 2
	;; [unrolled: 1-line block ×11, first 2 shown]
	v_cmp_lt_u64_e64 s[4:5], s[10:11], 56
	v_cmp_gt_u64_e64 s[14:15], s[10:11], 7
	s_and_b64 s[4:5], s[4:5], exec
	s_cselect_b32 s13, s11, 0
	s_cselect_b32 s12, s10, 56
	s_add_u32 s4, s8, 8
	s_addc_u32 s5, s9, 0
	s_and_b64 vcc, exec, s[14:15]
	s_cbranch_vccnz .LBB6_1527
; %bb.1524:                             ;   in Loop: Header=BB6_1523 Depth=1
	s_cmp_eq_u64 s[10:11], 0
	s_cbranch_scc1 .LBB6_1528
; %bb.1525:                             ;   in Loop: Header=BB6_1523 Depth=1
	s_waitcnt vmcnt(0)
	v_mov_b32_e32 v8, 0
	s_lshl_b64 s[4:5], s[12:13], 3
	s_mov_b64 s[14:15], 0
	v_mov_b32_e32 v9, 0
	s_mov_b64 s[16:17], s[8:9]
.LBB6_1526:                             ;   Parent Loop BB6_1523 Depth=1
                                        ; =>  This Inner Loop Header: Depth=2
	global_load_ubyte v2, v26, s[16:17]
	s_waitcnt vmcnt(0)
	v_and_b32_e32 v25, 0xffff, v2
	v_lshlrev_b64 v[2:3], s14, v[25:26]
	s_add_u32 s14, s14, 8
	s_addc_u32 s15, s15, 0
	s_add_u32 s16, s16, 1
	s_addc_u32 s17, s17, 0
	v_or_b32_e32 v8, v2, v8
	s_cmp_lg_u32 s4, s14
	v_or_b32_e32 v9, v3, v9
	s_cbranch_scc1 .LBB6_1526
	s_branch .LBB6_1529
.LBB6_1527:                             ;   in Loop: Header=BB6_1523 Depth=1
	s_mov_b64 s[14:15], -1
	s_branch .LBB6_1530
.LBB6_1528:                             ;   in Loop: Header=BB6_1523 Depth=1
	s_waitcnt vmcnt(0)
	v_mov_b32_e32 v8, 0
	v_mov_b32_e32 v9, 0
.LBB6_1529:                             ;   in Loop: Header=BB6_1523 Depth=1
	s_mov_b64 s[14:15], 0
	s_mov_b64 s[4:5], s[8:9]
.LBB6_1530:                             ;   in Loop: Header=BB6_1523 Depth=1
	s_andn2_b64 vcc, exec, s[14:15]
	s_mov_b32 s18, 0
	s_cbranch_vccnz .LBB6_1532
; %bb.1531:                             ;   in Loop: Header=BB6_1523 Depth=1
	global_load_dwordx2 v[8:9], v26, s[8:9]
	s_add_i32 s18, s12, -8
.LBB6_1532:                             ;   in Loop: Header=BB6_1523 Depth=1
	s_add_u32 s14, s4, 8
	s_addc_u32 s15, s5, 0
	s_cmp_gt_u32 s18, 7
	s_cbranch_scc1 .LBB6_1536
; %bb.1533:                             ;   in Loop: Header=BB6_1523 Depth=1
	s_cmp_eq_u32 s18, 0
	s_cbranch_scc1 .LBB6_1537
; %bb.1534:                             ;   in Loop: Header=BB6_1523 Depth=1
	v_mov_b32_e32 v10, 0
	s_mov_b64 s[14:15], 0
	v_mov_b32_e32 v11, 0
	s_mov_b64 s[16:17], 0
.LBB6_1535:                             ;   Parent Loop BB6_1523 Depth=1
                                        ; =>  This Inner Loop Header: Depth=2
	s_add_u32 s20, s4, s16
	s_addc_u32 s21, s5, s17
	global_load_ubyte v2, v26, s[20:21]
	s_add_u32 s16, s16, 1
	s_addc_u32 s17, s17, 0
	s_waitcnt vmcnt(0)
	v_and_b32_e32 v25, 0xffff, v2
	v_lshlrev_b64 v[2:3], s14, v[25:26]
	s_add_u32 s14, s14, 8
	s_addc_u32 s15, s15, 0
	v_or_b32_e32 v10, v2, v10
	s_cmp_lg_u32 s18, s16
	v_or_b32_e32 v11, v3, v11
	s_cbranch_scc1 .LBB6_1535
	s_branch .LBB6_1538
.LBB6_1536:                             ;   in Loop: Header=BB6_1523 Depth=1
	s_mov_b64 s[16:17], -1
                                        ; implicit-def: $vgpr10_vgpr11
	s_branch .LBB6_1539
.LBB6_1537:                             ;   in Loop: Header=BB6_1523 Depth=1
	v_mov_b32_e32 v10, 0
	v_mov_b32_e32 v11, 0
.LBB6_1538:                             ;   in Loop: Header=BB6_1523 Depth=1
	s_mov_b64 s[16:17], 0
	s_mov_b64 s[14:15], s[4:5]
.LBB6_1539:                             ;   in Loop: Header=BB6_1523 Depth=1
	s_andn2_b64 vcc, exec, s[16:17]
	s_mov_b32 s19, 0
	s_cbranch_vccnz .LBB6_1541
; %bb.1540:                             ;   in Loop: Header=BB6_1523 Depth=1
	global_load_dwordx2 v[10:11], v26, s[4:5]
	s_add_i32 s19, s18, -8
.LBB6_1541:                             ;   in Loop: Header=BB6_1523 Depth=1
	s_add_u32 s4, s14, 8
	s_addc_u32 s5, s15, 0
	s_cmp_gt_u32 s19, 7
	s_cbranch_scc1 .LBB6_1545
; %bb.1542:                             ;   in Loop: Header=BB6_1523 Depth=1
	s_cmp_eq_u32 s19, 0
	s_cbranch_scc1 .LBB6_1546
; %bb.1543:                             ;   in Loop: Header=BB6_1523 Depth=1
	v_mov_b32_e32 v12, 0
	s_mov_b64 s[4:5], 0
	v_mov_b32_e32 v13, 0
	s_mov_b64 s[16:17], 0
.LBB6_1544:                             ;   Parent Loop BB6_1523 Depth=1
                                        ; =>  This Inner Loop Header: Depth=2
	s_add_u32 s20, s14, s16
	s_addc_u32 s21, s15, s17
	global_load_ubyte v2, v26, s[20:21]
	s_add_u32 s16, s16, 1
	s_addc_u32 s17, s17, 0
	s_waitcnt vmcnt(0)
	v_and_b32_e32 v25, 0xffff, v2
	v_lshlrev_b64 v[2:3], s4, v[25:26]
	s_add_u32 s4, s4, 8
	s_addc_u32 s5, s5, 0
	v_or_b32_e32 v12, v2, v12
	s_cmp_lg_u32 s19, s16
	v_or_b32_e32 v13, v3, v13
	s_cbranch_scc1 .LBB6_1544
	s_branch .LBB6_1547
.LBB6_1545:                             ;   in Loop: Header=BB6_1523 Depth=1
	s_mov_b64 s[16:17], -1
	s_branch .LBB6_1548
.LBB6_1546:                             ;   in Loop: Header=BB6_1523 Depth=1
	v_mov_b32_e32 v12, 0
	v_mov_b32_e32 v13, 0
.LBB6_1547:                             ;   in Loop: Header=BB6_1523 Depth=1
	s_mov_b64 s[16:17], 0
	s_mov_b64 s[4:5], s[14:15]
.LBB6_1548:                             ;   in Loop: Header=BB6_1523 Depth=1
	s_andn2_b64 vcc, exec, s[16:17]
	s_mov_b32 s18, 0
	s_cbranch_vccnz .LBB6_1550
; %bb.1549:                             ;   in Loop: Header=BB6_1523 Depth=1
	global_load_dwordx2 v[12:13], v26, s[14:15]
	s_add_i32 s18, s19, -8
.LBB6_1550:                             ;   in Loop: Header=BB6_1523 Depth=1
	s_add_u32 s14, s4, 8
	s_addc_u32 s15, s5, 0
	s_cmp_gt_u32 s18, 7
	s_cbranch_scc1 .LBB6_1554
; %bb.1551:                             ;   in Loop: Header=BB6_1523 Depth=1
	s_cmp_eq_u32 s18, 0
	s_cbranch_scc1 .LBB6_1555
; %bb.1552:                             ;   in Loop: Header=BB6_1523 Depth=1
	v_mov_b32_e32 v14, 0
	s_mov_b64 s[14:15], 0
	v_mov_b32_e32 v15, 0
	s_mov_b64 s[16:17], 0
.LBB6_1553:                             ;   Parent Loop BB6_1523 Depth=1
                                        ; =>  This Inner Loop Header: Depth=2
	s_add_u32 s20, s4, s16
	s_addc_u32 s21, s5, s17
	global_load_ubyte v2, v26, s[20:21]
	s_add_u32 s16, s16, 1
	s_addc_u32 s17, s17, 0
	s_waitcnt vmcnt(0)
	v_and_b32_e32 v25, 0xffff, v2
	v_lshlrev_b64 v[2:3], s14, v[25:26]
	s_add_u32 s14, s14, 8
	s_addc_u32 s15, s15, 0
	v_or_b32_e32 v14, v2, v14
	s_cmp_lg_u32 s18, s16
	v_or_b32_e32 v15, v3, v15
	s_cbranch_scc1 .LBB6_1553
	s_branch .LBB6_1556
.LBB6_1554:                             ;   in Loop: Header=BB6_1523 Depth=1
	s_mov_b64 s[16:17], -1
                                        ; implicit-def: $vgpr14_vgpr15
	s_branch .LBB6_1557
.LBB6_1555:                             ;   in Loop: Header=BB6_1523 Depth=1
	v_mov_b32_e32 v14, 0
	v_mov_b32_e32 v15, 0
.LBB6_1556:                             ;   in Loop: Header=BB6_1523 Depth=1
	s_mov_b64 s[16:17], 0
	s_mov_b64 s[14:15], s[4:5]
.LBB6_1557:                             ;   in Loop: Header=BB6_1523 Depth=1
	s_andn2_b64 vcc, exec, s[16:17]
	s_mov_b32 s19, 0
	s_cbranch_vccnz .LBB6_1559
; %bb.1558:                             ;   in Loop: Header=BB6_1523 Depth=1
	global_load_dwordx2 v[14:15], v26, s[4:5]
	s_add_i32 s19, s18, -8
.LBB6_1559:                             ;   in Loop: Header=BB6_1523 Depth=1
	s_add_u32 s4, s14, 8
	s_addc_u32 s5, s15, 0
	s_cmp_gt_u32 s19, 7
	s_cbranch_scc1 .LBB6_1563
; %bb.1560:                             ;   in Loop: Header=BB6_1523 Depth=1
	s_cmp_eq_u32 s19, 0
	s_cbranch_scc1 .LBB6_1564
; %bb.1561:                             ;   in Loop: Header=BB6_1523 Depth=1
	v_mov_b32_e32 v16, 0
	s_mov_b64 s[4:5], 0
	v_mov_b32_e32 v17, 0
	s_mov_b64 s[16:17], 0
.LBB6_1562:                             ;   Parent Loop BB6_1523 Depth=1
                                        ; =>  This Inner Loop Header: Depth=2
	s_add_u32 s20, s14, s16
	s_addc_u32 s21, s15, s17
	global_load_ubyte v2, v26, s[20:21]
	s_add_u32 s16, s16, 1
	s_addc_u32 s17, s17, 0
	s_waitcnt vmcnt(0)
	v_and_b32_e32 v25, 0xffff, v2
	v_lshlrev_b64 v[2:3], s4, v[25:26]
	s_add_u32 s4, s4, 8
	s_addc_u32 s5, s5, 0
	v_or_b32_e32 v16, v2, v16
	s_cmp_lg_u32 s19, s16
	v_or_b32_e32 v17, v3, v17
	s_cbranch_scc1 .LBB6_1562
	s_branch .LBB6_1565
.LBB6_1563:                             ;   in Loop: Header=BB6_1523 Depth=1
	s_mov_b64 s[16:17], -1
	s_branch .LBB6_1566
.LBB6_1564:                             ;   in Loop: Header=BB6_1523 Depth=1
	v_mov_b32_e32 v16, 0
	v_mov_b32_e32 v17, 0
.LBB6_1565:                             ;   in Loop: Header=BB6_1523 Depth=1
	s_mov_b64 s[16:17], 0
	s_mov_b64 s[4:5], s[14:15]
.LBB6_1566:                             ;   in Loop: Header=BB6_1523 Depth=1
	s_andn2_b64 vcc, exec, s[16:17]
	s_mov_b32 s18, 0
	s_cbranch_vccnz .LBB6_1568
; %bb.1567:                             ;   in Loop: Header=BB6_1523 Depth=1
	global_load_dwordx2 v[16:17], v26, s[14:15]
	s_add_i32 s18, s19, -8
.LBB6_1568:                             ;   in Loop: Header=BB6_1523 Depth=1
	s_add_u32 s14, s4, 8
	s_addc_u32 s15, s5, 0
	s_cmp_gt_u32 s18, 7
	s_cbranch_scc1 .LBB6_1572
; %bb.1569:                             ;   in Loop: Header=BB6_1523 Depth=1
	s_cmp_eq_u32 s18, 0
	s_cbranch_scc1 .LBB6_1573
; %bb.1570:                             ;   in Loop: Header=BB6_1523 Depth=1
	v_mov_b32_e32 v18, 0
	s_mov_b64 s[14:15], 0
	v_mov_b32_e32 v19, 0
	s_mov_b64 s[16:17], 0
.LBB6_1571:                             ;   Parent Loop BB6_1523 Depth=1
                                        ; =>  This Inner Loop Header: Depth=2
	s_add_u32 s20, s4, s16
	s_addc_u32 s21, s5, s17
	global_load_ubyte v2, v26, s[20:21]
	s_add_u32 s16, s16, 1
	s_addc_u32 s17, s17, 0
	s_waitcnt vmcnt(0)
	v_and_b32_e32 v25, 0xffff, v2
	v_lshlrev_b64 v[2:3], s14, v[25:26]
	s_add_u32 s14, s14, 8
	s_addc_u32 s15, s15, 0
	v_or_b32_e32 v18, v2, v18
	s_cmp_lg_u32 s18, s16
	v_or_b32_e32 v19, v3, v19
	s_cbranch_scc1 .LBB6_1571
	s_branch .LBB6_1574
.LBB6_1572:                             ;   in Loop: Header=BB6_1523 Depth=1
	s_mov_b64 s[16:17], -1
                                        ; implicit-def: $vgpr18_vgpr19
	s_branch .LBB6_1575
.LBB6_1573:                             ;   in Loop: Header=BB6_1523 Depth=1
	v_mov_b32_e32 v18, 0
	v_mov_b32_e32 v19, 0
.LBB6_1574:                             ;   in Loop: Header=BB6_1523 Depth=1
	s_mov_b64 s[16:17], 0
	s_mov_b64 s[14:15], s[4:5]
.LBB6_1575:                             ;   in Loop: Header=BB6_1523 Depth=1
	s_andn2_b64 vcc, exec, s[16:17]
	s_mov_b32 s19, 0
	s_cbranch_vccnz .LBB6_1577
; %bb.1576:                             ;   in Loop: Header=BB6_1523 Depth=1
	global_load_dwordx2 v[18:19], v26, s[4:5]
	s_add_i32 s19, s18, -8
.LBB6_1577:                             ;   in Loop: Header=BB6_1523 Depth=1
	s_cmp_gt_u32 s19, 7
	s_cbranch_scc1 .LBB6_1581
; %bb.1578:                             ;   in Loop: Header=BB6_1523 Depth=1
	s_cmp_eq_u32 s19, 0
	s_cbranch_scc1 .LBB6_1582
; %bb.1579:                             ;   in Loop: Header=BB6_1523 Depth=1
	v_mov_b32_e32 v20, 0
	s_mov_b64 s[4:5], 0
	v_mov_b32_e32 v21, 0
	s_mov_b64 s[16:17], s[14:15]
.LBB6_1580:                             ;   Parent Loop BB6_1523 Depth=1
                                        ; =>  This Inner Loop Header: Depth=2
	global_load_ubyte v2, v26, s[16:17]
	s_add_i32 s19, s19, -1
	s_waitcnt vmcnt(0)
	v_and_b32_e32 v25, 0xffff, v2
	v_lshlrev_b64 v[2:3], s4, v[25:26]
	s_add_u32 s4, s4, 8
	s_addc_u32 s5, s5, 0
	s_add_u32 s16, s16, 1
	s_addc_u32 s17, s17, 0
	v_or_b32_e32 v20, v2, v20
	s_cmp_lg_u32 s19, 0
	v_or_b32_e32 v21, v3, v21
	s_cbranch_scc1 .LBB6_1580
	s_branch .LBB6_1583
.LBB6_1581:                             ;   in Loop: Header=BB6_1523 Depth=1
	s_mov_b64 s[4:5], -1
	s_branch .LBB6_1584
.LBB6_1582:                             ;   in Loop: Header=BB6_1523 Depth=1
	v_mov_b32_e32 v20, 0
	v_mov_b32_e32 v21, 0
.LBB6_1583:                             ;   in Loop: Header=BB6_1523 Depth=1
	s_mov_b64 s[4:5], 0
.LBB6_1584:                             ;   in Loop: Header=BB6_1523 Depth=1
	s_andn2_b64 vcc, exec, s[4:5]
	s_cbranch_vccnz .LBB6_1586
; %bb.1585:                             ;   in Loop: Header=BB6_1523 Depth=1
	global_load_dwordx2 v[20:21], v26, s[14:15]
.LBB6_1586:                             ;   in Loop: Header=BB6_1523 Depth=1
	v_readfirstlane_b32 s4, v30
	v_mov_b32_e32 v2, 0
	v_mov_b32_e32 v3, 0
	v_cmp_eq_u32_e64 s[4:5], s4, v30
	s_and_saveexec_b64 s[14:15], s[4:5]
	s_cbranch_execz .LBB6_1592
; %bb.1587:                             ;   in Loop: Header=BB6_1523 Depth=1
	global_load_dwordx2 v[24:25], v26, s[6:7] offset:24 glc
	s_waitcnt vmcnt(0)
	buffer_wbinvl1_vol
	global_load_dwordx2 v[2:3], v26, s[6:7] offset:40
	global_load_dwordx2 v[22:23], v26, s[6:7]
	s_waitcnt vmcnt(1)
	v_and_b32_e32 v2, v2, v24
	v_and_b32_e32 v3, v3, v25
	v_mul_lo_u32 v3, v3, 24
	v_mul_hi_u32 v27, v2, 24
	v_mul_lo_u32 v2, v2, 24
	v_add_u32_e32 v3, v27, v3
	s_waitcnt vmcnt(0)
	v_add_co_u32_e32 v2, vcc, v22, v2
	v_addc_co_u32_e32 v3, vcc, v23, v3, vcc
	global_load_dwordx2 v[22:23], v[2:3], off glc
	s_waitcnt vmcnt(0)
	global_atomic_cmpswap_x2 v[2:3], v26, v[22:25], s[6:7] offset:24 glc
	s_waitcnt vmcnt(0)
	buffer_wbinvl1_vol
	v_cmp_ne_u64_e32 vcc, v[2:3], v[24:25]
	s_and_saveexec_b64 s[16:17], vcc
	s_cbranch_execz .LBB6_1591
; %bb.1588:                             ;   in Loop: Header=BB6_1523 Depth=1
	s_mov_b64 s[18:19], 0
.LBB6_1589:                             ;   Parent Loop BB6_1523 Depth=1
                                        ; =>  This Inner Loop Header: Depth=2
	s_sleep 1
	global_load_dwordx2 v[22:23], v26, s[6:7] offset:40
	global_load_dwordx2 v[27:28], v26, s[6:7]
	v_mov_b32_e32 v25, v3
	v_mov_b32_e32 v24, v2
	s_waitcnt vmcnt(1)
	v_and_b32_e32 v2, v22, v24
	s_waitcnt vmcnt(0)
	v_mad_u64_u32 v[2:3], s[20:21], v2, 24, v[27:28]
	v_and_b32_e32 v22, v23, v25
	v_mad_u64_u32 v[22:23], s[20:21], v22, 24, v[3:4]
	v_mov_b32_e32 v3, v22
	global_load_dwordx2 v[22:23], v[2:3], off glc
	s_waitcnt vmcnt(0)
	global_atomic_cmpswap_x2 v[2:3], v26, v[22:25], s[6:7] offset:24 glc
	s_waitcnt vmcnt(0)
	buffer_wbinvl1_vol
	v_cmp_eq_u64_e32 vcc, v[2:3], v[24:25]
	s_or_b64 s[18:19], vcc, s[18:19]
	s_andn2_b64 exec, exec, s[18:19]
	s_cbranch_execnz .LBB6_1589
; %bb.1590:                             ;   in Loop: Header=BB6_1523 Depth=1
	s_or_b64 exec, exec, s[18:19]
.LBB6_1591:                             ;   in Loop: Header=BB6_1523 Depth=1
	s_or_b64 exec, exec, s[16:17]
.LBB6_1592:                             ;   in Loop: Header=BB6_1523 Depth=1
	s_or_b64 exec, exec, s[14:15]
	global_load_dwordx2 v[27:28], v26, s[6:7] offset:40
	global_load_dwordx4 v[22:25], v26, s[6:7]
	v_readfirstlane_b32 s15, v3
	v_readfirstlane_b32 s14, v2
	s_mov_b64 s[16:17], exec
	s_waitcnt vmcnt(1)
	v_readfirstlane_b32 s18, v27
	v_readfirstlane_b32 s19, v28
	s_and_b64 s[18:19], s[18:19], s[14:15]
	s_mul_i32 s20, s19, 24
	s_mul_hi_u32 s21, s18, 24
	s_mul_i32 s22, s18, 24
	s_add_i32 s20, s21, s20
	v_mov_b32_e32 v2, s20
	s_waitcnt vmcnt(0)
	v_add_co_u32_e32 v27, vcc, s22, v22
	v_addc_co_u32_e32 v28, vcc, v23, v2, vcc
	s_and_saveexec_b64 s[20:21], s[4:5]
	s_cbranch_execz .LBB6_1594
; %bb.1593:                             ;   in Loop: Header=BB6_1523 Depth=1
	v_mov_b32_e32 v2, s16
	v_mov_b32_e32 v3, s17
	global_store_dwordx4 v[27:28], v[2:5], off offset:8
.LBB6_1594:                             ;   in Loop: Header=BB6_1523 Depth=1
	s_or_b64 exec, exec, s[20:21]
	s_lshl_b64 s[16:17], s[18:19], 12
	v_cmp_gt_u64_e64 s[18:19], s[10:11], 56
	v_mov_b32_e32 v2, s17
	v_add_co_u32_e32 v24, vcc, s16, v24
	s_and_b64 s[16:17], s[18:19], exec
	s_cselect_b32 s16, 0, 2
	s_lshl_b32 s17, s12, 2
	v_addc_co_u32_e32 v31, vcc, v25, v2, vcc
	s_add_i32 s17, s17, 28
	v_and_b32_e32 v2, 0xffffff1f, v6
	s_and_b32 s17, s17, 0x1e0
	v_or_b32_e32 v2, s16, v2
	v_or_b32_e32 v6, s17, v2
	v_readfirstlane_b32 s16, v24
	v_readfirstlane_b32 s17, v31
	s_nop 4
	global_store_dwordx4 v29, v[6:9], s[16:17]
	global_store_dwordx4 v29, v[10:13], s[16:17] offset:16
	global_store_dwordx4 v29, v[14:17], s[16:17] offset:32
	;; [unrolled: 1-line block ×3, first 2 shown]
	s_and_saveexec_b64 s[16:17], s[4:5]
	s_cbranch_execz .LBB6_1602
; %bb.1595:                             ;   in Loop: Header=BB6_1523 Depth=1
	global_load_dwordx2 v[10:11], v26, s[6:7] offset:32 glc
	global_load_dwordx2 v[2:3], v26, s[6:7] offset:40
	v_mov_b32_e32 v8, s14
	v_mov_b32_e32 v9, s15
	s_waitcnt vmcnt(0)
	v_readfirstlane_b32 s18, v2
	v_readfirstlane_b32 s19, v3
	s_and_b64 s[18:19], s[18:19], s[14:15]
	s_mul_i32 s19, s19, 24
	s_mul_hi_u32 s20, s18, 24
	s_mul_i32 s18, s18, 24
	s_add_i32 s19, s20, s19
	v_mov_b32_e32 v3, s19
	v_add_co_u32_e32 v2, vcc, s18, v22
	v_addc_co_u32_e32 v3, vcc, v23, v3, vcc
	global_store_dwordx2 v[2:3], v[10:11], off
	s_waitcnt vmcnt(0)
	global_atomic_cmpswap_x2 v[8:9], v26, v[8:11], s[6:7] offset:32 glc
	s_waitcnt vmcnt(0)
	v_cmp_ne_u64_e32 vcc, v[8:9], v[10:11]
	s_and_saveexec_b64 s[18:19], vcc
	s_cbranch_execz .LBB6_1598
; %bb.1596:                             ;   in Loop: Header=BB6_1523 Depth=1
	s_mov_b64 s[20:21], 0
.LBB6_1597:                             ;   Parent Loop BB6_1523 Depth=1
                                        ; =>  This Inner Loop Header: Depth=2
	s_sleep 1
	global_store_dwordx2 v[2:3], v[8:9], off
	v_mov_b32_e32 v6, s14
	v_mov_b32_e32 v7, s15
	s_waitcnt vmcnt(0)
	global_atomic_cmpswap_x2 v[6:7], v26, v[6:9], s[6:7] offset:32 glc
	s_waitcnt vmcnt(0)
	v_cmp_eq_u64_e32 vcc, v[6:7], v[8:9]
	v_mov_b32_e32 v9, v7
	s_or_b64 s[20:21], vcc, s[20:21]
	v_mov_b32_e32 v8, v6
	s_andn2_b64 exec, exec, s[20:21]
	s_cbranch_execnz .LBB6_1597
.LBB6_1598:                             ;   in Loop: Header=BB6_1523 Depth=1
	s_or_b64 exec, exec, s[18:19]
	global_load_dwordx2 v[2:3], v26, s[6:7] offset:16
	s_mov_b64 s[20:21], exec
	v_mbcnt_lo_u32_b32 v6, s20, 0
	v_mbcnt_hi_u32_b32 v6, s21, v6
	v_cmp_eq_u32_e32 vcc, 0, v6
	s_and_saveexec_b64 s[18:19], vcc
	s_cbranch_execz .LBB6_1600
; %bb.1599:                             ;   in Loop: Header=BB6_1523 Depth=1
	s_bcnt1_i32_b64 s20, s[20:21]
	v_mov_b32_e32 v25, s20
	s_waitcnt vmcnt(0)
	global_atomic_add_x2 v[2:3], v[25:26], off offset:8
.LBB6_1600:                             ;   in Loop: Header=BB6_1523 Depth=1
	s_or_b64 exec, exec, s[18:19]
	s_waitcnt vmcnt(0)
	global_load_dwordx2 v[6:7], v[2:3], off offset:16
	s_waitcnt vmcnt(0)
	v_cmp_eq_u64_e32 vcc, 0, v[6:7]
	s_cbranch_vccnz .LBB6_1602
; %bb.1601:                             ;   in Loop: Header=BB6_1523 Depth=1
	global_load_dword v25, v[2:3], off offset:24
	s_waitcnt vmcnt(0)
	v_readfirstlane_b32 s18, v25
	s_and_b32 m0, s18, 0xffffff
	global_store_dwordx2 v[6:7], v[25:26], off
	s_sendmsg sendmsg(MSG_INTERRUPT)
.LBB6_1602:                             ;   in Loop: Header=BB6_1523 Depth=1
	s_or_b64 exec, exec, s[16:17]
	v_add_co_u32_e32 v2, vcc, v24, v29
	v_addc_co_u32_e32 v3, vcc, 0, v31, vcc
	s_branch .LBB6_1606
.LBB6_1603:                             ;   in Loop: Header=BB6_1606 Depth=2
	s_or_b64 exec, exec, s[16:17]
	v_readfirstlane_b32 s16, v6
	s_cmp_eq_u32 s16, 0
	s_cbranch_scc1 .LBB6_1605
; %bb.1604:                             ;   in Loop: Header=BB6_1606 Depth=2
	s_sleep 1
	s_cbranch_execnz .LBB6_1606
	s_branch .LBB6_1608
.LBB6_1605:                             ;   in Loop: Header=BB6_1523 Depth=1
	s_branch .LBB6_1608
.LBB6_1606:                             ;   Parent Loop BB6_1523 Depth=1
                                        ; =>  This Inner Loop Header: Depth=2
	v_mov_b32_e32 v6, 1
	s_and_saveexec_b64 s[16:17], s[4:5]
	s_cbranch_execz .LBB6_1603
; %bb.1607:                             ;   in Loop: Header=BB6_1606 Depth=2
	global_load_dword v6, v[27:28], off offset:20 glc
	s_waitcnt vmcnt(0)
	buffer_wbinvl1_vol
	v_and_b32_e32 v6, 1, v6
	s_branch .LBB6_1603
.LBB6_1608:                             ;   in Loop: Header=BB6_1523 Depth=1
	global_load_dwordx4 v[6:9], v[2:3], off
	s_and_saveexec_b64 s[16:17], s[4:5]
	s_cbranch_execz .LBB6_1522
; %bb.1609:                             ;   in Loop: Header=BB6_1523 Depth=1
	global_load_dwordx2 v[2:3], v26, s[6:7] offset:40
	global_load_dwordx2 v[12:13], v26, s[6:7] offset:24 glc
	global_load_dwordx2 v[8:9], v26, s[6:7]
	s_waitcnt vmcnt(2)
	v_readfirstlane_b32 s18, v2
	v_readfirstlane_b32 s19, v3
	s_add_u32 s20, s18, 1
	s_addc_u32 s21, s19, 0
	s_add_u32 s4, s20, s14
	s_addc_u32 s5, s21, s15
	s_cmp_eq_u64 s[4:5], 0
	s_cselect_b32 s5, s21, s5
	s_cselect_b32 s4, s20, s4
	s_and_b64 s[14:15], s[4:5], s[18:19]
	s_mul_i32 s15, s15, 24
	s_mul_hi_u32 s18, s14, 24
	s_mul_i32 s14, s14, 24
	s_add_i32 s15, s18, s15
	v_mov_b32_e32 v3, s15
	s_waitcnt vmcnt(0)
	v_add_co_u32_e32 v2, vcc, s14, v8
	v_addc_co_u32_e32 v3, vcc, v9, v3, vcc
	v_mov_b32_e32 v10, s4
	global_store_dwordx2 v[2:3], v[12:13], off
	v_mov_b32_e32 v11, s5
	s_waitcnt vmcnt(0)
	global_atomic_cmpswap_x2 v[10:11], v26, v[10:13], s[6:7] offset:24 glc
	s_waitcnt vmcnt(0)
	v_cmp_ne_u64_e32 vcc, v[10:11], v[12:13]
	s_and_b64 exec, exec, vcc
	s_cbranch_execz .LBB6_1522
; %bb.1610:                             ;   in Loop: Header=BB6_1523 Depth=1
	s_mov_b64 s[14:15], 0
.LBB6_1611:                             ;   Parent Loop BB6_1523 Depth=1
                                        ; =>  This Inner Loop Header: Depth=2
	s_sleep 1
	global_store_dwordx2 v[2:3], v[10:11], off
	v_mov_b32_e32 v8, s4
	v_mov_b32_e32 v9, s5
	s_waitcnt vmcnt(0)
	global_atomic_cmpswap_x2 v[8:9], v26, v[8:11], s[6:7] offset:24 glc
	s_waitcnt vmcnt(0)
	v_cmp_eq_u64_e32 vcc, v[8:9], v[10:11]
	v_mov_b32_e32 v11, v9
	s_or_b64 s[14:15], vcc, s[14:15]
	v_mov_b32_e32 v10, v8
	s_andn2_b64 exec, exec, s[14:15]
	s_cbranch_execnz .LBB6_1611
	s_branch .LBB6_1522
.LBB6_1612:
	s_mov_b64 s[4:5], 0
	s_branch .LBB6_1614
.LBB6_1613:
	s_mov_b64 s[4:5], -1
.LBB6_1614:
	s_and_b64 vcc, exec, s[4:5]
	s_cbranch_vccz .LBB6_1641
; %bb.1615:
	v_readfirstlane_b32 s4, v30
	s_waitcnt vmcnt(0)
	v_mov_b32_e32 v8, 0
	v_mov_b32_e32 v9, 0
	v_cmp_eq_u32_e64 s[4:5], s4, v30
	s_and_saveexec_b64 s[8:9], s[4:5]
	s_cbranch_execz .LBB6_1621
; %bb.1616:
	v_mov_b32_e32 v2, 0
	global_load_dwordx2 v[5:6], v2, s[6:7] offset:24 glc
	s_waitcnt vmcnt(0)
	buffer_wbinvl1_vol
	global_load_dwordx2 v[3:4], v2, s[6:7] offset:40
	global_load_dwordx2 v[7:8], v2, s[6:7]
	s_waitcnt vmcnt(1)
	v_and_b32_e32 v3, v3, v5
	v_and_b32_e32 v4, v4, v6
	v_mul_lo_u32 v4, v4, 24
	v_mul_hi_u32 v9, v3, 24
	v_mul_lo_u32 v3, v3, 24
	v_add_u32_e32 v4, v9, v4
	s_waitcnt vmcnt(0)
	v_add_co_u32_e32 v3, vcc, v7, v3
	v_addc_co_u32_e32 v4, vcc, v8, v4, vcc
	global_load_dwordx2 v[3:4], v[3:4], off glc
	s_waitcnt vmcnt(0)
	global_atomic_cmpswap_x2 v[8:9], v2, v[3:6], s[6:7] offset:24 glc
	s_waitcnt vmcnt(0)
	buffer_wbinvl1_vol
	v_cmp_ne_u64_e32 vcc, v[8:9], v[5:6]
	s_and_saveexec_b64 s[10:11], vcc
	s_cbranch_execz .LBB6_1620
; %bb.1617:
	s_mov_b64 s[12:13], 0
.LBB6_1618:                             ; =>This Inner Loop Header: Depth=1
	s_sleep 1
	global_load_dwordx2 v[3:4], v2, s[6:7] offset:40
	global_load_dwordx2 v[10:11], v2, s[6:7]
	v_mov_b32_e32 v5, v8
	v_mov_b32_e32 v6, v9
	s_waitcnt vmcnt(1)
	v_and_b32_e32 v3, v3, v5
	s_waitcnt vmcnt(0)
	v_mad_u64_u32 v[7:8], s[14:15], v3, 24, v[10:11]
	v_and_b32_e32 v4, v4, v6
	v_mov_b32_e32 v3, v8
	v_mad_u64_u32 v[3:4], s[14:15], v4, 24, v[3:4]
	v_mov_b32_e32 v8, v3
	global_load_dwordx2 v[3:4], v[7:8], off glc
	s_waitcnt vmcnt(0)
	global_atomic_cmpswap_x2 v[8:9], v2, v[3:6], s[6:7] offset:24 glc
	s_waitcnt vmcnt(0)
	buffer_wbinvl1_vol
	v_cmp_eq_u64_e32 vcc, v[8:9], v[5:6]
	s_or_b64 s[12:13], vcc, s[12:13]
	s_andn2_b64 exec, exec, s[12:13]
	s_cbranch_execnz .LBB6_1618
; %bb.1619:
	s_or_b64 exec, exec, s[12:13]
.LBB6_1620:
	s_or_b64 exec, exec, s[10:11]
.LBB6_1621:
	s_or_b64 exec, exec, s[8:9]
	v_mov_b32_e32 v2, 0
	global_load_dwordx2 v[10:11], v2, s[6:7] offset:40
	global_load_dwordx4 v[4:7], v2, s[6:7]
	v_readfirstlane_b32 s9, v9
	v_readfirstlane_b32 s8, v8
	s_mov_b64 s[10:11], exec
	s_waitcnt vmcnt(1)
	v_readfirstlane_b32 s12, v10
	v_readfirstlane_b32 s13, v11
	s_and_b64 s[12:13], s[12:13], s[8:9]
	s_mul_i32 s14, s13, 24
	s_mul_hi_u32 s15, s12, 24
	s_mul_i32 s16, s12, 24
	s_add_i32 s14, s15, s14
	v_mov_b32_e32 v3, s14
	s_waitcnt vmcnt(0)
	v_add_co_u32_e32 v8, vcc, s16, v4
	v_addc_co_u32_e32 v9, vcc, v5, v3, vcc
	s_and_saveexec_b64 s[14:15], s[4:5]
	s_cbranch_execz .LBB6_1623
; %bb.1622:
	v_mov_b32_e32 v10, s10
	v_mov_b32_e32 v11, s11
	v_mov_b32_e32 v12, 2
	v_mov_b32_e32 v13, 1
	global_store_dwordx4 v[8:9], v[10:13], off offset:8
.LBB6_1623:
	s_or_b64 exec, exec, s[14:15]
	s_lshl_b64 s[10:11], s[12:13], 12
	v_mov_b32_e32 v3, s11
	v_add_co_u32_e32 v6, vcc, s10, v6
	v_addc_co_u32_e32 v7, vcc, v7, v3, vcc
	s_movk_i32 s10, 0xff1d
	v_and_or_b32 v0, v0, s10, 34
	s_mov_b32 s12, 0
	v_mov_b32_e32 v3, v2
	v_readfirstlane_b32 s10, v6
	v_readfirstlane_b32 s11, v7
	s_mov_b32 s13, s12
	s_mov_b32 s14, s12
	;; [unrolled: 1-line block ×3, first 2 shown]
	s_nop 1
	global_store_dwordx4 v29, v[0:3], s[10:11]
	s_nop 0
	v_mov_b32_e32 v0, s12
	v_mov_b32_e32 v1, s13
	;; [unrolled: 1-line block ×4, first 2 shown]
	global_store_dwordx4 v29, v[0:3], s[10:11] offset:16
	global_store_dwordx4 v29, v[0:3], s[10:11] offset:32
	;; [unrolled: 1-line block ×3, first 2 shown]
	s_and_saveexec_b64 s[10:11], s[4:5]
	s_cbranch_execz .LBB6_1631
; %bb.1624:
	v_mov_b32_e32 v6, 0
	global_load_dwordx2 v[12:13], v6, s[6:7] offset:32 glc
	global_load_dwordx2 v[0:1], v6, s[6:7] offset:40
	v_mov_b32_e32 v10, s8
	v_mov_b32_e32 v11, s9
	s_waitcnt vmcnt(0)
	v_readfirstlane_b32 s12, v0
	v_readfirstlane_b32 s13, v1
	s_and_b64 s[12:13], s[12:13], s[8:9]
	s_mul_i32 s13, s13, 24
	s_mul_hi_u32 s14, s12, 24
	s_mul_i32 s12, s12, 24
	s_add_i32 s13, s14, s13
	v_mov_b32_e32 v0, s13
	v_add_co_u32_e32 v4, vcc, s12, v4
	v_addc_co_u32_e32 v5, vcc, v5, v0, vcc
	global_store_dwordx2 v[4:5], v[12:13], off
	s_waitcnt vmcnt(0)
	global_atomic_cmpswap_x2 v[2:3], v6, v[10:13], s[6:7] offset:32 glc
	s_waitcnt vmcnt(0)
	v_cmp_ne_u64_e32 vcc, v[2:3], v[12:13]
	s_and_saveexec_b64 s[12:13], vcc
	s_cbranch_execz .LBB6_1627
; %bb.1625:
	s_mov_b64 s[14:15], 0
.LBB6_1626:                             ; =>This Inner Loop Header: Depth=1
	s_sleep 1
	global_store_dwordx2 v[4:5], v[2:3], off
	v_mov_b32_e32 v0, s8
	v_mov_b32_e32 v1, s9
	s_waitcnt vmcnt(0)
	global_atomic_cmpswap_x2 v[0:1], v6, v[0:3], s[6:7] offset:32 glc
	s_waitcnt vmcnt(0)
	v_cmp_eq_u64_e32 vcc, v[0:1], v[2:3]
	v_mov_b32_e32 v3, v1
	s_or_b64 s[14:15], vcc, s[14:15]
	v_mov_b32_e32 v2, v0
	s_andn2_b64 exec, exec, s[14:15]
	s_cbranch_execnz .LBB6_1626
.LBB6_1627:
	s_or_b64 exec, exec, s[12:13]
	v_mov_b32_e32 v3, 0
	global_load_dwordx2 v[0:1], v3, s[6:7] offset:16
	s_mov_b64 s[12:13], exec
	v_mbcnt_lo_u32_b32 v2, s12, 0
	v_mbcnt_hi_u32_b32 v2, s13, v2
	v_cmp_eq_u32_e32 vcc, 0, v2
	s_and_saveexec_b64 s[14:15], vcc
	s_cbranch_execz .LBB6_1629
; %bb.1628:
	s_bcnt1_i32_b64 s12, s[12:13]
	v_mov_b32_e32 v2, s12
	s_waitcnt vmcnt(0)
	global_atomic_add_x2 v[0:1], v[2:3], off offset:8
.LBB6_1629:
	s_or_b64 exec, exec, s[14:15]
	s_waitcnt vmcnt(0)
	global_load_dwordx2 v[2:3], v[0:1], off offset:16
	s_waitcnt vmcnt(0)
	v_cmp_eq_u64_e32 vcc, 0, v[2:3]
	s_cbranch_vccnz .LBB6_1631
; %bb.1630:
	global_load_dword v0, v[0:1], off offset:24
	v_mov_b32_e32 v1, 0
	s_waitcnt vmcnt(0)
	v_readfirstlane_b32 s12, v0
	s_and_b32 m0, s12, 0xffffff
	global_store_dwordx2 v[2:3], v[0:1], off
	s_sendmsg sendmsg(MSG_INTERRUPT)
.LBB6_1631:
	s_or_b64 exec, exec, s[10:11]
	s_branch .LBB6_1635
.LBB6_1632:                             ;   in Loop: Header=BB6_1635 Depth=1
	s_or_b64 exec, exec, s[10:11]
	v_readfirstlane_b32 s10, v0
	s_cmp_eq_u32 s10, 0
	s_cbranch_scc1 .LBB6_1634
; %bb.1633:                             ;   in Loop: Header=BB6_1635 Depth=1
	s_sleep 1
	s_cbranch_execnz .LBB6_1635
	s_branch .LBB6_1637
.LBB6_1634:
	s_branch .LBB6_1637
.LBB6_1635:                             ; =>This Inner Loop Header: Depth=1
	v_mov_b32_e32 v0, 1
	s_and_saveexec_b64 s[10:11], s[4:5]
	s_cbranch_execz .LBB6_1632
; %bb.1636:                             ;   in Loop: Header=BB6_1635 Depth=1
	global_load_dword v0, v[8:9], off offset:20 glc
	s_waitcnt vmcnt(0)
	buffer_wbinvl1_vol
	v_and_b32_e32 v0, 1, v0
	s_branch .LBB6_1632
.LBB6_1637:
	s_and_saveexec_b64 s[10:11], s[4:5]
	s_cbranch_execz .LBB6_1640
; %bb.1638:
	v_mov_b32_e32 v6, 0
	global_load_dwordx2 v[0:1], v6, s[6:7] offset:40
	global_load_dwordx2 v[9:10], v6, s[6:7] offset:24 glc
	global_load_dwordx2 v[2:3], v6, s[6:7]
	s_waitcnt vmcnt(2)
	v_readfirstlane_b32 s12, v0
	v_readfirstlane_b32 s13, v1
	s_add_u32 s14, s12, 1
	s_addc_u32 s15, s13, 0
	s_add_u32 s4, s14, s8
	s_addc_u32 s5, s15, s9
	s_cmp_eq_u64 s[4:5], 0
	s_cselect_b32 s5, s15, s5
	s_cselect_b32 s4, s14, s4
	s_and_b64 s[8:9], s[4:5], s[12:13]
	s_mul_i32 s9, s9, 24
	s_mul_hi_u32 s12, s8, 24
	s_mul_i32 s8, s8, 24
	s_add_i32 s9, s12, s9
	v_mov_b32_e32 v0, s9
	s_waitcnt vmcnt(0)
	v_add_co_u32_e32 v4, vcc, s8, v2
	v_addc_co_u32_e32 v5, vcc, v3, v0, vcc
	v_mov_b32_e32 v7, s4
	global_store_dwordx2 v[4:5], v[9:10], off
	v_mov_b32_e32 v8, s5
	s_waitcnt vmcnt(0)
	global_atomic_cmpswap_x2 v[2:3], v6, v[7:10], s[6:7] offset:24 glc
	s_mov_b64 s[8:9], 0
	s_waitcnt vmcnt(0)
	v_cmp_ne_u64_e32 vcc, v[2:3], v[9:10]
	s_and_b64 exec, exec, vcc
	s_cbranch_execz .LBB6_1640
.LBB6_1639:                             ; =>This Inner Loop Header: Depth=1
	s_sleep 1
	global_store_dwordx2 v[4:5], v[2:3], off
	v_mov_b32_e32 v0, s4
	v_mov_b32_e32 v1, s5
	s_waitcnt vmcnt(0)
	global_atomic_cmpswap_x2 v[0:1], v6, v[0:3], s[6:7] offset:24 glc
	s_waitcnt vmcnt(0)
	v_cmp_eq_u64_e32 vcc, v[0:1], v[2:3]
	v_mov_b32_e32 v3, v1
	s_or_b64 s[8:9], vcc, s[8:9]
	v_mov_b32_e32 v2, v0
	s_andn2_b64 exec, exec, s[8:9]
	s_cbranch_execnz .LBB6_1639
.LBB6_1640:
	s_or_b64 exec, exec, s[10:11]
.LBB6_1641:
	s_getpc_b64 s[4:5]
	s_add_u32 s4, s4, .str.29@rel32@lo+4
	s_addc_u32 s5, s5, .str.29@rel32@hi+12
	s_getpc_b64 s[6:7]
	s_add_u32 s6, s6, .str.19@rel32@lo+4
	s_addc_u32 s7, s7, .str.19@rel32@hi+12
	s_getpc_b64 s[10:11]
	s_add_u32 s10, s10, __PRETTY_FUNCTION__._ZN7VecsMemIjLi8192EE5fetchEi@rel32@lo+4
	s_addc_u32 s11, s11, __PRETTY_FUNCTION__._ZN7VecsMemIjLi8192EE5fetchEi@rel32@hi+12
	s_getpc_b64 s[12:13]
	s_add_u32 s12, s12, __assert_fail@rel32@lo+4
	s_addc_u32 s13, s13, __assert_fail@rel32@hi+12
	s_mov_b64 s[8:9], s[64:65]
	s_waitcnt vmcnt(0)
	v_mov_b32_e32 v0, s4
	v_mov_b32_e32 v1, s5
	;; [unrolled: 1-line block ×7, first 2 shown]
	s_swappc_b64 s[30:31], s[12:13]
	s_or_b64 s[28:29], s[28:29], exec
.LBB6_1642:
	s_or_b64 exec, exec, s[40:41]
	v_readlane_b32 s4, v62, 6
	v_readlane_b32 s5, v62, 7
	s_andn2_b64 s[6:7], s[4:5], exec
	s_and_b64 s[8:9], s[28:29], exec
	s_or_b64 s[34:35], s[6:7], s[8:9]
	s_and_b64 s[48:49], s[26:27], exec
	v_readlane_b32 s74, v62, 40
	v_readlane_b32 s42, v62, 26
	;; [unrolled: 1-line block ×29, first 2 shown]
	s_mov_b64 s[76:77], 0
	v_readlane_b32 s79, v62, 29
	v_readlane_b32 s89, v62, 9
	;; [unrolled: 1-line block ×11, first 2 shown]
                                        ; implicit-def: $vgpr44
                                        ; implicit-def: $vgpr42
                                        ; implicit-def: $vgpr47
                                        ; implicit-def: $vgpr46
.LBB6_1643:
	s_andn2_saveexec_b64 s[8:9], s[8:9]
	s_cbranch_execz .LBB6_1860
; %bb.1644:
	v_writelane_b32 v62, s8, 26
	v_writelane_b32 v62, s9, 27
	s_mov_b64 s[36:37], src_private_base
	v_lshrrev_b32_e64 v0, 6, s33
	v_writelane_b32 v62, s92, 36
	s_getpc_b64 s[38:39]
	s_add_u32 s38, s38, _ZN3sop12sopFactorRecEPNS_3SopEiP7VecsMemIjLi8192EEPN8subgUtil4SubgILi256EEE@rel32@lo+4
	s_addc_u32 s39, s39, _ZN3sop12sopFactorRecEPNS_3SopEiP7VecsMemIjLi8192EEPN8subgUtil4SubgILi256EEE@rel32@hi+12
	s_mov_b64 s[8:9], s[64:65]
	v_add_u32_e32 v0, 0x78, v0
	v_mov_b32_e32 v1, s37
	v_mov_b32_e32 v2, v47
	v_mov_b32_e32 v3, v44
	v_mov_b32_e32 v4, v45
	v_mov_b32_e32 v5, v42
	v_mov_b32_e32 v6, v43
	v_writelane_b32 v62, s93, 37
	s_mov_b64 s[96:97], s[62:63]
	s_mov_b64 s[86:87], s[28:29]
	;; [unrolled: 1-line block ×4, first 2 shown]
	s_swappc_b64 s[30:31], s[38:39]
	v_mov_b32_e32 v40, v0
	v_lshrrev_b32_e64 v0, 6, s33
	s_mov_b64 s[8:9], s[64:65]
	v_add_u32_e32 v0, 0x88, v0
	v_mov_b32_e32 v1, s37
	v_mov_b32_e32 v2, v47
	;; [unrolled: 1-line block ×6, first 2 shown]
	s_swappc_b64 s[30:31], s[38:39]
	flat_load_dword v1, v[42:43]
	s_movk_i32 s4, 0xff
	s_mov_b64 s[36:37], s[34:35]
	s_waitcnt vmcnt(0) lgkmcnt(0)
	v_cmp_lt_i32_e32 vcc, s4, v1
	s_and_saveexec_b64 s[4:5], vcc
	s_xor_b64 s[26:27], exec, s[4:5]
	s_cbranch_execz .LBB6_1646
; %bb.1645:
	s_getpc_b64 s[4:5]
	s_add_u32 s4, s4, .str.43@rel32@lo+4
	s_addc_u32 s5, s5, .str.43@rel32@hi+12
	s_getpc_b64 s[6:7]
	s_add_u32 s6, s6, .str.44@rel32@lo+4
	s_addc_u32 s7, s7, .str.44@rel32@hi+12
	s_getpc_b64 s[10:11]
	s_add_u32 s10, s10, __PRETTY_FUNCTION__._ZN8subgUtil4SubgILi256EE10addNodeAndEii@rel32@lo+4
	s_addc_u32 s11, s11, __PRETTY_FUNCTION__._ZN8subgUtil4SubgILi256EE10addNodeAndEii@rel32@hi+12
	s_getpc_b64 s[12:13]
	s_add_u32 s12, s12, __assert_fail@rel32@lo+4
	s_addc_u32 s13, s13, __assert_fail@rel32@hi+12
	s_mov_b64 s[8:9], s[64:65]
	v_mov_b32_e32 v0, s4
	v_mov_b32_e32 v1, s5
	;; [unrolled: 1-line block ×7, first 2 shown]
	s_swappc_b64 s[30:31], s[12:13]
	s_or_b64 s[36:37], s[34:35], exec
                                        ; implicit-def: $vgpr1
                                        ; implicit-def: $vgpr40
                                        ; implicit-def: $vgpr0
                                        ; implicit-def: $vgpr44
                                        ; implicit-def: $vgpr42
                                        ; implicit-def: $vgpr47
                                        ; implicit-def: $vgpr46
.LBB6_1646:
	s_or_saveexec_b64 s[4:5], s[26:27]
	s_mov_b64 s[6:7], s[48:49]
                                        ; implicit-def: $vgpr41
	s_xor_b64 exec, exec, s[4:5]
	s_cbranch_execz .LBB6_1859
; %bb.1647:
	v_writelane_b32 v62, s4, 20
	v_or_b32_e32 v2, v0, v40
	v_writelane_b32 v62, s5, 21
	v_cmp_lt_i32_e32 vcc, -1, v2
	s_mov_b64 s[38:39], s[48:49]
	s_mov_b64 s[26:27], s[48:49]
	;; [unrolled: 1-line block ×3, first 2 shown]
                                        ; implicit-def: $vgpr41
	s_and_saveexec_b64 s[4:5], vcc
	s_xor_b64 s[48:49], exec, s[4:5]
	s_cbranch_execz .LBB6_1856
; %bb.1648:
	v_ashrrev_i32_e32 v2, 31, v1
	v_lshlrev_b64 v[5:6], 3, v[1:2]
	v_min_i32_e32 v4, v40, v0
	v_add_co_u32_e32 v5, vcc, v42, v5
	v_max_i32_e32 v0, v40, v0
	v_addc_co_u32_e32 v6, vcc, v43, v6, vcc
	v_lshlrev_b32_e32 v3, 1, v0
	v_add_u32_e32 v0, 1, v1
	v_lshlrev_b32_e32 v41, 1, v1
	v_cmp_ne_u32_e32 vcc, v56, v46
	s_mov_b64 s[4:5], -1
	s_mov_b64 s[6:7], s[36:37]
	flat_store_dword v[42:43], v0
	flat_store_dwordx2 v[5:6], v[3:4] offset:8
	s_and_saveexec_b64 s[50:51], vcc
	s_cbranch_execz .LBB6_1855
; %bb.1649:
	s_mov_b64 s[4:5], src_private_base
	v_lshrrev_b32_e64 v0, 6, s33
	s_getpc_b64 s[6:7]
	s_add_u32 s6, s6, _ZN3sop12sopFactorRecEPNS_3SopEiP7VecsMemIjLi8192EEPN8subgUtil4SubgILi256EEE@rel32@lo+4
	s_addc_u32 s7, s7, _ZN3sop12sopFactorRecEPNS_3SopEiP7VecsMemIjLi8192EEPN8subgUtil4SubgILi256EEE@rel32@hi+12
	s_mov_b64 s[8:9], s[64:65]
	v_add_u32_e32 v0, 0x98, v0
	v_mov_b32_e32 v1, s5
	v_mov_b32_e32 v2, v47
	;; [unrolled: 1-line block ×6, first 2 shown]
	s_swappc_b64 s[30:31], s[6:7]
	flat_load_dword v1, v[42:43]
	s_movk_i32 s4, 0xff
	s_mov_b64 s[26:27], s[36:37]
	s_waitcnt vmcnt(0) lgkmcnt(0)
	v_cmp_lt_i32_e32 vcc, s4, v1
	s_and_saveexec_b64 s[4:5], vcc
	s_xor_b64 s[28:29], exec, s[4:5]
	s_cbranch_execz .LBB6_1651
; %bb.1650:
	s_getpc_b64 s[4:5]
	s_add_u32 s4, s4, .str.43@rel32@lo+4
	s_addc_u32 s5, s5, .str.43@rel32@hi+12
	s_getpc_b64 s[6:7]
	s_add_u32 s6, s6, .str.44@rel32@lo+4
	s_addc_u32 s7, s7, .str.44@rel32@hi+12
	s_getpc_b64 s[10:11]
	s_add_u32 s10, s10, __PRETTY_FUNCTION__._ZN8subgUtil4SubgILi256EE9addNodeOrEii@rel32@lo+4
	s_addc_u32 s11, s11, __PRETTY_FUNCTION__._ZN8subgUtil4SubgILi256EE9addNodeOrEii@rel32@hi+12
	s_getpc_b64 s[12:13]
	s_add_u32 s12, s12, __assert_fail@rel32@lo+4
	s_addc_u32 s13, s13, __assert_fail@rel32@hi+12
	s_mov_b64 s[8:9], s[64:65]
	v_mov_b32_e32 v0, s4
	v_mov_b32_e32 v1, s5
	;; [unrolled: 1-line block ×7, first 2 shown]
	s_swappc_b64 s[30:31], s[12:13]
	s_or_b64 s[26:27], s[36:37], exec
                                        ; implicit-def: $vgpr0
                                        ; implicit-def: $vgpr41
                                        ; implicit-def: $vgpr42_vgpr43
.LBB6_1651:
	s_or_saveexec_b64 s[28:29], s[28:29]
	s_mov_b64 s[4:5], 0
	s_xor_b64 exec, exec, s[28:29]
	s_cbranch_execz .LBB6_1854
; %bb.1652:
	v_max_i32_e32 v3, v41, v0
	v_min_i32_e32 v36, v41, v0
	v_xor_b32_e32 v30, 1, v36
	v_xor_b32_e32 v33, 1, v3
	v_cmp_gt_i32_e64 s[4:5], v30, v33
	s_and_saveexec_b64 s[8:9], s[4:5]
	s_cbranch_execz .LBB6_1849
; %bb.1653:
	s_load_dwordx2 s[10:11], s[64:65], 0x50
	v_mbcnt_lo_u32_b32 v1, -1, 0
	v_mbcnt_hi_u32_b32 v35, -1, v1
	v_readfirstlane_b32 s6, v35
	v_mov_b32_e32 v1, 0
	v_mov_b32_e32 v2, 0
	v_cmp_eq_u32_e64 s[6:7], s6, v35
	s_and_saveexec_b64 s[12:13], s[6:7]
	s_cbranch_execz .LBB6_1659
; %bb.1654:
	v_mov_b32_e32 v4, 0
	s_waitcnt lgkmcnt(0)
	global_load_dwordx2 v[7:8], v4, s[10:11] offset:24 glc
	s_waitcnt vmcnt(0)
	buffer_wbinvl1_vol
	global_load_dwordx2 v[1:2], v4, s[10:11] offset:40
	global_load_dwordx2 v[5:6], v4, s[10:11]
	s_waitcnt vmcnt(1)
	v_and_b32_e32 v1, v1, v7
	v_and_b32_e32 v2, v2, v8
	v_mul_lo_u32 v2, v2, 24
	v_mul_hi_u32 v9, v1, 24
	v_mul_lo_u32 v1, v1, 24
	v_add_u32_e32 v2, v9, v2
	s_waitcnt vmcnt(0)
	v_add_co_u32_e32 v1, vcc, v5, v1
	v_addc_co_u32_e32 v2, vcc, v6, v2, vcc
	global_load_dwordx2 v[5:6], v[1:2], off glc
	s_waitcnt vmcnt(0)
	global_atomic_cmpswap_x2 v[1:2], v4, v[5:8], s[10:11] offset:24 glc
	s_waitcnt vmcnt(0)
	buffer_wbinvl1_vol
	v_cmp_ne_u64_e32 vcc, v[1:2], v[7:8]
	s_and_saveexec_b64 s[14:15], vcc
	s_cbranch_execz .LBB6_1658
; %bb.1655:
	s_mov_b64 s[16:17], 0
.LBB6_1656:                             ; =>This Inner Loop Header: Depth=1
	s_sleep 1
	global_load_dwordx2 v[5:6], v4, s[10:11] offset:40
	global_load_dwordx2 v[9:10], v4, s[10:11]
	v_mov_b32_e32 v8, v2
	v_mov_b32_e32 v7, v1
	s_waitcnt vmcnt(1)
	v_and_b32_e32 v1, v5, v7
	s_waitcnt vmcnt(0)
	v_mad_u64_u32 v[1:2], s[18:19], v1, 24, v[9:10]
	v_and_b32_e32 v5, v6, v8
	v_mad_u64_u32 v[5:6], s[18:19], v5, 24, v[2:3]
	v_mov_b32_e32 v2, v5
	global_load_dwordx2 v[5:6], v[1:2], off glc
	s_waitcnt vmcnt(0)
	global_atomic_cmpswap_x2 v[1:2], v4, v[5:8], s[10:11] offset:24 glc
	s_waitcnt vmcnt(0)
	buffer_wbinvl1_vol
	v_cmp_eq_u64_e32 vcc, v[1:2], v[7:8]
	s_or_b64 s[16:17], vcc, s[16:17]
	s_andn2_b64 exec, exec, s[16:17]
	s_cbranch_execnz .LBB6_1656
; %bb.1657:
	s_or_b64 exec, exec, s[16:17]
.LBB6_1658:
	s_or_b64 exec, exec, s[14:15]
.LBB6_1659:
	s_or_b64 exec, exec, s[12:13]
	v_mov_b32_e32 v8, 0
	s_waitcnt lgkmcnt(0)
	global_load_dwordx2 v[9:10], v8, s[10:11] offset:40
	global_load_dwordx4 v[4:7], v8, s[10:11]
	v_readfirstlane_b32 s13, v2
	v_readfirstlane_b32 s12, v1
	s_mov_b64 s[14:15], exec
	s_waitcnt vmcnt(1)
	v_readfirstlane_b32 s16, v9
	v_readfirstlane_b32 s17, v10
	s_and_b64 s[16:17], s[16:17], s[12:13]
	s_mul_i32 s18, s17, 24
	s_mul_hi_u32 s19, s16, 24
	s_mul_i32 s20, s16, 24
	s_add_i32 s18, s19, s18
	v_mov_b32_e32 v2, s18
	s_waitcnt vmcnt(0)
	v_add_co_u32_e32 v1, vcc, s20, v4
	v_addc_co_u32_e32 v2, vcc, v5, v2, vcc
	s_and_saveexec_b64 s[18:19], s[6:7]
	s_cbranch_execz .LBB6_1661
; %bb.1660:
	v_mov_b32_e32 v9, s14
	v_mov_b32_e32 v10, s15
	;; [unrolled: 1-line block ×4, first 2 shown]
	global_store_dwordx4 v[1:2], v[9:12], off offset:8
.LBB6_1661:
	s_or_b64 exec, exec, s[18:19]
	s_lshl_b64 s[14:15], s[16:17], 12
	v_mov_b32_e32 v9, s15
	v_add_co_u32_e32 v6, vcc, s14, v6
	v_addc_co_u32_e32 v13, vcc, v7, v9, vcc
	v_lshlrev_b32_e32 v34, 6, v35
	s_mov_b32 s16, 0
	v_mov_b32_e32 v7, 33
	v_mov_b32_e32 v9, v8
	;; [unrolled: 1-line block ×3, first 2 shown]
	v_readfirstlane_b32 s14, v6
	v_readfirstlane_b32 s15, v13
	v_add_co_u32_e32 v11, vcc, v6, v34
	s_mov_b32 s17, s16
	s_mov_b32 s18, s16
	;; [unrolled: 1-line block ×3, first 2 shown]
	s_nop 0
	global_store_dwordx4 v34, v[7:10], s[14:15]
	v_mov_b32_e32 v6, s16
	v_addc_co_u32_e32 v12, vcc, 0, v13, vcc
	v_mov_b32_e32 v7, s17
	v_mov_b32_e32 v8, s18
	;; [unrolled: 1-line block ×3, first 2 shown]
	global_store_dwordx4 v34, v[6:9], s[14:15] offset:16
	global_store_dwordx4 v34, v[6:9], s[14:15] offset:32
	;; [unrolled: 1-line block ×3, first 2 shown]
	s_and_saveexec_b64 s[14:15], s[6:7]
	s_cbranch_execz .LBB6_1669
; %bb.1662:
	v_mov_b32_e32 v10, 0
	global_load_dwordx2 v[15:16], v10, s[10:11] offset:32 glc
	global_load_dwordx2 v[6:7], v10, s[10:11] offset:40
	v_mov_b32_e32 v13, s12
	v_mov_b32_e32 v14, s13
	s_waitcnt vmcnt(0)
	v_and_b32_e32 v6, s12, v6
	v_and_b32_e32 v7, s13, v7
	v_mul_lo_u32 v7, v7, 24
	v_mul_hi_u32 v8, v6, 24
	v_mul_lo_u32 v6, v6, 24
	v_add_u32_e32 v7, v8, v7
	v_add_co_u32_e32 v8, vcc, v4, v6
	v_addc_co_u32_e32 v9, vcc, v5, v7, vcc
	global_store_dwordx2 v[8:9], v[15:16], off
	s_waitcnt vmcnt(0)
	global_atomic_cmpswap_x2 v[6:7], v10, v[13:16], s[10:11] offset:32 glc
	s_waitcnt vmcnt(0)
	v_cmp_ne_u64_e32 vcc, v[6:7], v[15:16]
	s_and_saveexec_b64 s[16:17], vcc
	s_cbranch_execz .LBB6_1665
; %bb.1663:
	s_mov_b64 s[18:19], 0
.LBB6_1664:                             ; =>This Inner Loop Header: Depth=1
	s_sleep 1
	global_store_dwordx2 v[8:9], v[6:7], off
	v_mov_b32_e32 v4, s12
	v_mov_b32_e32 v5, s13
	s_waitcnt vmcnt(0)
	global_atomic_cmpswap_x2 v[4:5], v10, v[4:7], s[10:11] offset:32 glc
	s_waitcnt vmcnt(0)
	v_cmp_eq_u64_e32 vcc, v[4:5], v[6:7]
	v_mov_b32_e32 v7, v5
	s_or_b64 s[18:19], vcc, s[18:19]
	v_mov_b32_e32 v6, v4
	s_andn2_b64 exec, exec, s[18:19]
	s_cbranch_execnz .LBB6_1664
.LBB6_1665:
	s_or_b64 exec, exec, s[16:17]
	v_mov_b32_e32 v7, 0
	global_load_dwordx2 v[4:5], v7, s[10:11] offset:16
	s_mov_b64 s[16:17], exec
	v_mbcnt_lo_u32_b32 v6, s16, 0
	v_mbcnt_hi_u32_b32 v6, s17, v6
	v_cmp_eq_u32_e32 vcc, 0, v6
	s_and_saveexec_b64 s[18:19], vcc
	s_cbranch_execz .LBB6_1667
; %bb.1666:
	s_bcnt1_i32_b64 s16, s[16:17]
	v_mov_b32_e32 v6, s16
	s_waitcnt vmcnt(0)
	global_atomic_add_x2 v[4:5], v[6:7], off offset:8
.LBB6_1667:
	s_or_b64 exec, exec, s[18:19]
	s_waitcnt vmcnt(0)
	global_load_dwordx2 v[6:7], v[4:5], off offset:16
	s_waitcnt vmcnt(0)
	v_cmp_eq_u64_e32 vcc, 0, v[6:7]
	s_cbranch_vccnz .LBB6_1669
; %bb.1668:
	global_load_dword v4, v[4:5], off offset:24
	v_mov_b32_e32 v5, 0
	s_waitcnt vmcnt(0)
	v_readfirstlane_b32 s16, v4
	s_and_b32 m0, s16, 0xffffff
	global_store_dwordx2 v[6:7], v[4:5], off
	s_sendmsg sendmsg(MSG_INTERRUPT)
.LBB6_1669:
	s_or_b64 exec, exec, s[14:15]
	s_branch .LBB6_1673
.LBB6_1670:                             ;   in Loop: Header=BB6_1673 Depth=1
	s_or_b64 exec, exec, s[14:15]
	v_readfirstlane_b32 s14, v4
	s_cmp_eq_u32 s14, 0
	s_cbranch_scc1 .LBB6_1672
; %bb.1671:                             ;   in Loop: Header=BB6_1673 Depth=1
	s_sleep 1
	s_cbranch_execnz .LBB6_1673
	s_branch .LBB6_1675
.LBB6_1672:
	s_branch .LBB6_1675
.LBB6_1673:                             ; =>This Inner Loop Header: Depth=1
	v_mov_b32_e32 v4, 1
	s_and_saveexec_b64 s[14:15], s[6:7]
	s_cbranch_execz .LBB6_1670
; %bb.1674:                             ;   in Loop: Header=BB6_1673 Depth=1
	global_load_dword v4, v[1:2], off offset:20 glc
	s_waitcnt vmcnt(0)
	buffer_wbinvl1_vol
	v_and_b32_e32 v4, 1, v4
	s_branch .LBB6_1670
.LBB6_1675:
	global_load_dwordx2 v[4:5], v[11:12], off
	s_and_saveexec_b64 s[14:15], s[6:7]
	s_cbranch_execz .LBB6_1678
; %bb.1676:
	v_mov_b32_e32 v10, 0
	global_load_dwordx2 v[1:2], v10, s[10:11] offset:40
	global_load_dwordx2 v[13:14], v10, s[10:11] offset:24 glc
	global_load_dwordx2 v[6:7], v10, s[10:11]
	s_waitcnt vmcnt(2)
	v_readfirstlane_b32 s16, v1
	v_readfirstlane_b32 s17, v2
	s_add_u32 s18, s16, 1
	s_addc_u32 s19, s17, 0
	s_add_u32 s6, s18, s12
	s_addc_u32 s7, s19, s13
	s_cmp_eq_u64 s[6:7], 0
	s_cselect_b32 s7, s19, s7
	s_cselect_b32 s6, s18, s6
	s_and_b64 s[12:13], s[6:7], s[16:17]
	s_mul_i32 s13, s13, 24
	s_mul_hi_u32 s16, s12, 24
	s_mul_i32 s12, s12, 24
	s_add_i32 s13, s16, s13
	v_mov_b32_e32 v2, s13
	s_waitcnt vmcnt(0)
	v_add_co_u32_e32 v1, vcc, s12, v6
	v_addc_co_u32_e32 v2, vcc, v7, v2, vcc
	v_mov_b32_e32 v11, s6
	global_store_dwordx2 v[1:2], v[13:14], off
	v_mov_b32_e32 v12, s7
	s_waitcnt vmcnt(0)
	global_atomic_cmpswap_x2 v[8:9], v10, v[11:14], s[10:11] offset:24 glc
	s_mov_b64 s[12:13], 0
	s_waitcnt vmcnt(0)
	v_cmp_ne_u64_e32 vcc, v[8:9], v[13:14]
	s_and_b64 exec, exec, vcc
	s_cbranch_execz .LBB6_1678
.LBB6_1677:                             ; =>This Inner Loop Header: Depth=1
	s_sleep 1
	global_store_dwordx2 v[1:2], v[8:9], off
	v_mov_b32_e32 v6, s6
	v_mov_b32_e32 v7, s7
	s_waitcnt vmcnt(0)
	global_atomic_cmpswap_x2 v[6:7], v10, v[6:9], s[10:11] offset:24 glc
	s_waitcnt vmcnt(0)
	v_cmp_eq_u64_e32 vcc, v[6:7], v[8:9]
	v_mov_b32_e32 v9, v7
	s_or_b64 s[12:13], vcc, s[12:13]
	v_mov_b32_e32 v8, v6
	s_andn2_b64 exec, exec, s[12:13]
	s_cbranch_execnz .LBB6_1677
.LBB6_1678:
	s_or_b64 exec, exec, s[14:15]
	s_getpc_b64 s[12:13]
	s_add_u32 s12, s12, .str.45@rel32@lo+4
	s_addc_u32 s13, s13, .str.45@rel32@hi+12
	s_cmp_lg_u64 s[12:13], 0
	s_cbranch_scc0 .LBB6_1771
; %bb.1679:
	s_waitcnt vmcnt(0)
	v_and_b32_e32 v37, 2, v4
	v_mov_b32_e32 v2, 0
	v_and_b32_e32 v6, -3, v4
	v_mov_b32_e32 v7, v5
	s_mov_b64 s[14:15], 7
	v_mov_b32_e32 v12, 2
	v_mov_b32_e32 v13, 1
	s_branch .LBB6_1681
.LBB6_1680:                             ;   in Loop: Header=BB6_1681 Depth=1
	s_or_b64 exec, exec, s[20:21]
	s_sub_u32 s14, s14, s16
	s_subb_u32 s15, s15, s17
	s_add_u32 s12, s12, s16
	s_addc_u32 s13, s13, s17
	s_cmp_lg_u64 s[14:15], 0
	s_cbranch_scc0 .LBB6_1770
.LBB6_1681:                             ; =>This Loop Header: Depth=1
                                        ;     Child Loop BB6_1684 Depth 2
                                        ;     Child Loop BB6_1693 Depth 2
	;; [unrolled: 1-line block ×11, first 2 shown]
	v_cmp_lt_u64_e64 s[6:7], s[14:15], 56
	v_cmp_gt_u64_e64 s[18:19], s[14:15], 7
	s_and_b64 s[6:7], s[6:7], exec
	s_cselect_b32 s17, s15, 0
	s_cselect_b32 s16, s14, 56
	s_add_u32 s6, s12, 8
	s_addc_u32 s7, s13, 0
	s_and_b64 vcc, exec, s[18:19]
	s_cbranch_vccnz .LBB6_1685
; %bb.1682:                             ;   in Loop: Header=BB6_1681 Depth=1
	s_cmp_eq_u64 s[14:15], 0
	s_cbranch_scc1 .LBB6_1686
; %bb.1683:                             ;   in Loop: Header=BB6_1681 Depth=1
	v_mov_b32_e32 v8, 0
	s_lshl_b64 s[6:7], s[16:17], 3
	s_mov_b64 s[18:19], 0
	v_mov_b32_e32 v9, 0
	s_mov_b64 s[20:21], s[12:13]
.LBB6_1684:                             ;   Parent Loop BB6_1681 Depth=1
                                        ; =>  This Inner Loop Header: Depth=2
	global_load_ubyte v1, v2, s[20:21]
	s_waitcnt vmcnt(0)
	v_and_b32_e32 v1, 0xffff, v1
	v_lshlrev_b64 v[10:11], s18, v[1:2]
	s_add_u32 s18, s18, 8
	s_addc_u32 s19, s19, 0
	s_add_u32 s20, s20, 1
	s_addc_u32 s21, s21, 0
	v_or_b32_e32 v8, v10, v8
	s_cmp_lg_u32 s6, s18
	v_or_b32_e32 v9, v11, v9
	s_cbranch_scc1 .LBB6_1684
	s_branch .LBB6_1687
.LBB6_1685:                             ;   in Loop: Header=BB6_1681 Depth=1
	s_mov_b64 s[18:19], -1
	s_branch .LBB6_1688
.LBB6_1686:                             ;   in Loop: Header=BB6_1681 Depth=1
	v_mov_b32_e32 v8, 0
	v_mov_b32_e32 v9, 0
.LBB6_1687:                             ;   in Loop: Header=BB6_1681 Depth=1
	s_mov_b64 s[18:19], 0
	s_mov_b64 s[6:7], s[12:13]
.LBB6_1688:                             ;   in Loop: Header=BB6_1681 Depth=1
	s_andn2_b64 vcc, exec, s[18:19]
	s_mov_b32 s22, 0
	s_cbranch_vccnz .LBB6_1690
; %bb.1689:                             ;   in Loop: Header=BB6_1681 Depth=1
	global_load_dwordx2 v[8:9], v2, s[12:13]
	s_add_i32 s22, s16, -8
.LBB6_1690:                             ;   in Loop: Header=BB6_1681 Depth=1
	s_add_u32 s18, s6, 8
	s_addc_u32 s19, s7, 0
	s_cmp_gt_u32 s22, 7
	s_cbranch_scc1 .LBB6_1694
; %bb.1691:                             ;   in Loop: Header=BB6_1681 Depth=1
	s_cmp_eq_u32 s22, 0
	s_cbranch_scc1 .LBB6_1695
; %bb.1692:                             ;   in Loop: Header=BB6_1681 Depth=1
	v_mov_b32_e32 v14, 0
	s_mov_b64 s[18:19], 0
	v_mov_b32_e32 v15, 0
	s_mov_b64 s[20:21], 0
.LBB6_1693:                             ;   Parent Loop BB6_1681 Depth=1
                                        ; =>  This Inner Loop Header: Depth=2
	s_add_u32 s24, s6, s20
	s_addc_u32 s25, s7, s21
	global_load_ubyte v1, v2, s[24:25]
	s_add_u32 s20, s20, 1
	s_addc_u32 s21, s21, 0
	s_waitcnt vmcnt(0)
	v_and_b32_e32 v1, 0xffff, v1
	v_lshlrev_b64 v[10:11], s18, v[1:2]
	s_add_u32 s18, s18, 8
	s_addc_u32 s19, s19, 0
	v_or_b32_e32 v14, v10, v14
	s_cmp_lg_u32 s22, s20
	v_or_b32_e32 v15, v11, v15
	s_cbranch_scc1 .LBB6_1693
	s_branch .LBB6_1696
.LBB6_1694:                             ;   in Loop: Header=BB6_1681 Depth=1
	s_mov_b64 s[20:21], -1
                                        ; implicit-def: $vgpr14_vgpr15
	s_branch .LBB6_1697
.LBB6_1695:                             ;   in Loop: Header=BB6_1681 Depth=1
	v_mov_b32_e32 v14, 0
	v_mov_b32_e32 v15, 0
.LBB6_1696:                             ;   in Loop: Header=BB6_1681 Depth=1
	s_mov_b64 s[20:21], 0
	s_mov_b64 s[18:19], s[6:7]
.LBB6_1697:                             ;   in Loop: Header=BB6_1681 Depth=1
	s_andn2_b64 vcc, exec, s[20:21]
	s_mov_b32 s23, 0
	s_cbranch_vccnz .LBB6_1699
; %bb.1698:                             ;   in Loop: Header=BB6_1681 Depth=1
	global_load_dwordx2 v[14:15], v2, s[6:7]
	s_add_i32 s23, s22, -8
.LBB6_1699:                             ;   in Loop: Header=BB6_1681 Depth=1
	s_add_u32 s6, s18, 8
	s_addc_u32 s7, s19, 0
	s_cmp_gt_u32 s23, 7
	s_cbranch_scc1 .LBB6_1703
; %bb.1700:                             ;   in Loop: Header=BB6_1681 Depth=1
	s_cmp_eq_u32 s23, 0
	s_cbranch_scc1 .LBB6_1704
; %bb.1701:                             ;   in Loop: Header=BB6_1681 Depth=1
	v_mov_b32_e32 v16, 0
	s_mov_b64 s[6:7], 0
	v_mov_b32_e32 v17, 0
	s_mov_b64 s[20:21], 0
.LBB6_1702:                             ;   Parent Loop BB6_1681 Depth=1
                                        ; =>  This Inner Loop Header: Depth=2
	s_add_u32 s24, s18, s20
	s_addc_u32 s25, s19, s21
	global_load_ubyte v1, v2, s[24:25]
	s_add_u32 s20, s20, 1
	s_addc_u32 s21, s21, 0
	s_waitcnt vmcnt(0)
	v_and_b32_e32 v1, 0xffff, v1
	v_lshlrev_b64 v[10:11], s6, v[1:2]
	s_add_u32 s6, s6, 8
	s_addc_u32 s7, s7, 0
	v_or_b32_e32 v16, v10, v16
	s_cmp_lg_u32 s23, s20
	v_or_b32_e32 v17, v11, v17
	s_cbranch_scc1 .LBB6_1702
	s_branch .LBB6_1705
.LBB6_1703:                             ;   in Loop: Header=BB6_1681 Depth=1
	s_mov_b64 s[20:21], -1
	s_branch .LBB6_1706
.LBB6_1704:                             ;   in Loop: Header=BB6_1681 Depth=1
	v_mov_b32_e32 v16, 0
	v_mov_b32_e32 v17, 0
.LBB6_1705:                             ;   in Loop: Header=BB6_1681 Depth=1
	s_mov_b64 s[20:21], 0
	s_mov_b64 s[6:7], s[18:19]
.LBB6_1706:                             ;   in Loop: Header=BB6_1681 Depth=1
	s_andn2_b64 vcc, exec, s[20:21]
	s_mov_b32 s22, 0
	s_cbranch_vccnz .LBB6_1708
; %bb.1707:                             ;   in Loop: Header=BB6_1681 Depth=1
	global_load_dwordx2 v[16:17], v2, s[18:19]
	s_add_i32 s22, s23, -8
.LBB6_1708:                             ;   in Loop: Header=BB6_1681 Depth=1
	s_add_u32 s18, s6, 8
	s_addc_u32 s19, s7, 0
	s_cmp_gt_u32 s22, 7
	s_cbranch_scc1 .LBB6_1712
; %bb.1709:                             ;   in Loop: Header=BB6_1681 Depth=1
	s_cmp_eq_u32 s22, 0
	s_cbranch_scc1 .LBB6_1713
; %bb.1710:                             ;   in Loop: Header=BB6_1681 Depth=1
	v_mov_b32_e32 v18, 0
	s_mov_b64 s[18:19], 0
	v_mov_b32_e32 v19, 0
	s_mov_b64 s[20:21], 0
.LBB6_1711:                             ;   Parent Loop BB6_1681 Depth=1
                                        ; =>  This Inner Loop Header: Depth=2
	s_add_u32 s24, s6, s20
	s_addc_u32 s25, s7, s21
	global_load_ubyte v1, v2, s[24:25]
	s_add_u32 s20, s20, 1
	s_addc_u32 s21, s21, 0
	s_waitcnt vmcnt(0)
	v_and_b32_e32 v1, 0xffff, v1
	v_lshlrev_b64 v[10:11], s18, v[1:2]
	s_add_u32 s18, s18, 8
	s_addc_u32 s19, s19, 0
	v_or_b32_e32 v18, v10, v18
	s_cmp_lg_u32 s22, s20
	v_or_b32_e32 v19, v11, v19
	s_cbranch_scc1 .LBB6_1711
	s_branch .LBB6_1714
.LBB6_1712:                             ;   in Loop: Header=BB6_1681 Depth=1
	s_mov_b64 s[20:21], -1
                                        ; implicit-def: $vgpr18_vgpr19
	s_branch .LBB6_1715
.LBB6_1713:                             ;   in Loop: Header=BB6_1681 Depth=1
	v_mov_b32_e32 v18, 0
	v_mov_b32_e32 v19, 0
.LBB6_1714:                             ;   in Loop: Header=BB6_1681 Depth=1
	s_mov_b64 s[20:21], 0
	s_mov_b64 s[18:19], s[6:7]
.LBB6_1715:                             ;   in Loop: Header=BB6_1681 Depth=1
	s_andn2_b64 vcc, exec, s[20:21]
	s_mov_b32 s23, 0
	s_cbranch_vccnz .LBB6_1717
; %bb.1716:                             ;   in Loop: Header=BB6_1681 Depth=1
	global_load_dwordx2 v[18:19], v2, s[6:7]
	s_add_i32 s23, s22, -8
.LBB6_1717:                             ;   in Loop: Header=BB6_1681 Depth=1
	s_add_u32 s6, s18, 8
	s_addc_u32 s7, s19, 0
	s_cmp_gt_u32 s23, 7
	s_cbranch_scc1 .LBB6_1721
; %bb.1718:                             ;   in Loop: Header=BB6_1681 Depth=1
	s_cmp_eq_u32 s23, 0
	s_cbranch_scc1 .LBB6_1722
; %bb.1719:                             ;   in Loop: Header=BB6_1681 Depth=1
	v_mov_b32_e32 v20, 0
	s_mov_b64 s[6:7], 0
	v_mov_b32_e32 v21, 0
	s_mov_b64 s[20:21], 0
.LBB6_1720:                             ;   Parent Loop BB6_1681 Depth=1
                                        ; =>  This Inner Loop Header: Depth=2
	s_add_u32 s24, s18, s20
	s_addc_u32 s25, s19, s21
	global_load_ubyte v1, v2, s[24:25]
	s_add_u32 s20, s20, 1
	s_addc_u32 s21, s21, 0
	s_waitcnt vmcnt(0)
	v_and_b32_e32 v1, 0xffff, v1
	v_lshlrev_b64 v[10:11], s6, v[1:2]
	s_add_u32 s6, s6, 8
	s_addc_u32 s7, s7, 0
	v_or_b32_e32 v20, v10, v20
	s_cmp_lg_u32 s23, s20
	v_or_b32_e32 v21, v11, v21
	s_cbranch_scc1 .LBB6_1720
	s_branch .LBB6_1723
.LBB6_1721:                             ;   in Loop: Header=BB6_1681 Depth=1
	s_mov_b64 s[20:21], -1
	s_branch .LBB6_1724
.LBB6_1722:                             ;   in Loop: Header=BB6_1681 Depth=1
	v_mov_b32_e32 v20, 0
	v_mov_b32_e32 v21, 0
.LBB6_1723:                             ;   in Loop: Header=BB6_1681 Depth=1
	s_mov_b64 s[20:21], 0
	s_mov_b64 s[6:7], s[18:19]
.LBB6_1724:                             ;   in Loop: Header=BB6_1681 Depth=1
	s_andn2_b64 vcc, exec, s[20:21]
	s_mov_b32 s22, 0
	s_cbranch_vccnz .LBB6_1726
; %bb.1725:                             ;   in Loop: Header=BB6_1681 Depth=1
	global_load_dwordx2 v[20:21], v2, s[18:19]
	s_add_i32 s22, s23, -8
.LBB6_1726:                             ;   in Loop: Header=BB6_1681 Depth=1
	s_add_u32 s18, s6, 8
	s_addc_u32 s19, s7, 0
	s_cmp_gt_u32 s22, 7
	s_cbranch_scc1 .LBB6_1730
; %bb.1727:                             ;   in Loop: Header=BB6_1681 Depth=1
	s_cmp_eq_u32 s22, 0
	s_cbranch_scc1 .LBB6_1731
; %bb.1728:                             ;   in Loop: Header=BB6_1681 Depth=1
	v_mov_b32_e32 v22, 0
	s_mov_b64 s[18:19], 0
	v_mov_b32_e32 v23, 0
	s_mov_b64 s[20:21], 0
.LBB6_1729:                             ;   Parent Loop BB6_1681 Depth=1
                                        ; =>  This Inner Loop Header: Depth=2
	s_add_u32 s24, s6, s20
	s_addc_u32 s25, s7, s21
	global_load_ubyte v1, v2, s[24:25]
	s_add_u32 s20, s20, 1
	s_addc_u32 s21, s21, 0
	s_waitcnt vmcnt(0)
	v_and_b32_e32 v1, 0xffff, v1
	v_lshlrev_b64 v[10:11], s18, v[1:2]
	s_add_u32 s18, s18, 8
	s_addc_u32 s19, s19, 0
	v_or_b32_e32 v22, v10, v22
	s_cmp_lg_u32 s22, s20
	v_or_b32_e32 v23, v11, v23
	s_cbranch_scc1 .LBB6_1729
	s_branch .LBB6_1732
.LBB6_1730:                             ;   in Loop: Header=BB6_1681 Depth=1
	s_mov_b64 s[20:21], -1
                                        ; implicit-def: $vgpr22_vgpr23
	s_branch .LBB6_1733
.LBB6_1731:                             ;   in Loop: Header=BB6_1681 Depth=1
	v_mov_b32_e32 v22, 0
	v_mov_b32_e32 v23, 0
.LBB6_1732:                             ;   in Loop: Header=BB6_1681 Depth=1
	s_mov_b64 s[20:21], 0
	s_mov_b64 s[18:19], s[6:7]
.LBB6_1733:                             ;   in Loop: Header=BB6_1681 Depth=1
	s_andn2_b64 vcc, exec, s[20:21]
	s_mov_b32 s23, 0
	s_cbranch_vccnz .LBB6_1735
; %bb.1734:                             ;   in Loop: Header=BB6_1681 Depth=1
	global_load_dwordx2 v[22:23], v2, s[6:7]
	s_add_i32 s23, s22, -8
.LBB6_1735:                             ;   in Loop: Header=BB6_1681 Depth=1
	s_cmp_gt_u32 s23, 7
	s_cbranch_scc1 .LBB6_1739
; %bb.1736:                             ;   in Loop: Header=BB6_1681 Depth=1
	s_cmp_eq_u32 s23, 0
	s_cbranch_scc1 .LBB6_1740
; %bb.1737:                             ;   in Loop: Header=BB6_1681 Depth=1
	v_mov_b32_e32 v24, 0
	s_mov_b64 s[6:7], 0
	v_mov_b32_e32 v25, 0
	s_mov_b64 s[20:21], s[18:19]
.LBB6_1738:                             ;   Parent Loop BB6_1681 Depth=1
                                        ; =>  This Inner Loop Header: Depth=2
	global_load_ubyte v1, v2, s[20:21]
	s_add_i32 s23, s23, -1
	s_waitcnt vmcnt(0)
	v_and_b32_e32 v1, 0xffff, v1
	v_lshlrev_b64 v[10:11], s6, v[1:2]
	s_add_u32 s6, s6, 8
	s_addc_u32 s7, s7, 0
	s_add_u32 s20, s20, 1
	s_addc_u32 s21, s21, 0
	v_or_b32_e32 v24, v10, v24
	s_cmp_lg_u32 s23, 0
	v_or_b32_e32 v25, v11, v25
	s_cbranch_scc1 .LBB6_1738
	s_branch .LBB6_1741
.LBB6_1739:                             ;   in Loop: Header=BB6_1681 Depth=1
	s_mov_b64 s[6:7], -1
	s_branch .LBB6_1742
.LBB6_1740:                             ;   in Loop: Header=BB6_1681 Depth=1
	v_mov_b32_e32 v24, 0
	v_mov_b32_e32 v25, 0
.LBB6_1741:                             ;   in Loop: Header=BB6_1681 Depth=1
	s_mov_b64 s[6:7], 0
.LBB6_1742:                             ;   in Loop: Header=BB6_1681 Depth=1
	s_andn2_b64 vcc, exec, s[6:7]
	s_cbranch_vccnz .LBB6_1744
; %bb.1743:                             ;   in Loop: Header=BB6_1681 Depth=1
	global_load_dwordx2 v[24:25], v2, s[18:19]
.LBB6_1744:                             ;   in Loop: Header=BB6_1681 Depth=1
	v_readfirstlane_b32 s6, v35
	v_mov_b32_e32 v10, 0
	v_mov_b32_e32 v11, 0
	v_cmp_eq_u32_e64 s[6:7], s6, v35
	s_and_saveexec_b64 s[18:19], s[6:7]
	s_cbranch_execz .LBB6_1750
; %bb.1745:                             ;   in Loop: Header=BB6_1681 Depth=1
	global_load_dwordx2 v[28:29], v2, s[10:11] offset:24 glc
	s_waitcnt vmcnt(0)
	buffer_wbinvl1_vol
	global_load_dwordx2 v[10:11], v2, s[10:11] offset:40
	global_load_dwordx2 v[26:27], v2, s[10:11]
	s_waitcnt vmcnt(1)
	v_and_b32_e32 v1, v10, v28
	v_and_b32_e32 v10, v11, v29
	v_mul_lo_u32 v10, v10, 24
	v_mul_hi_u32 v11, v1, 24
	v_mul_lo_u32 v1, v1, 24
	v_add_u32_e32 v11, v11, v10
	s_waitcnt vmcnt(0)
	v_add_co_u32_e32 v10, vcc, v26, v1
	v_addc_co_u32_e32 v11, vcc, v27, v11, vcc
	global_load_dwordx2 v[26:27], v[10:11], off glc
	s_waitcnt vmcnt(0)
	global_atomic_cmpswap_x2 v[10:11], v2, v[26:29], s[10:11] offset:24 glc
	s_waitcnt vmcnt(0)
	buffer_wbinvl1_vol
	v_cmp_ne_u64_e32 vcc, v[10:11], v[28:29]
	s_and_saveexec_b64 s[20:21], vcc
	s_cbranch_execz .LBB6_1749
; %bb.1746:                             ;   in Loop: Header=BB6_1681 Depth=1
	s_mov_b64 s[22:23], 0
.LBB6_1747:                             ;   Parent Loop BB6_1681 Depth=1
                                        ; =>  This Inner Loop Header: Depth=2
	s_sleep 1
	global_load_dwordx2 v[26:27], v2, s[10:11] offset:40
	global_load_dwordx2 v[31:32], v2, s[10:11]
	v_mov_b32_e32 v29, v11
	v_mov_b32_e32 v28, v10
	s_waitcnt vmcnt(1)
	v_and_b32_e32 v1, v26, v28
	s_waitcnt vmcnt(0)
	v_mad_u64_u32 v[10:11], s[24:25], v1, 24, v[31:32]
	v_and_b32_e32 v26, v27, v29
	v_mov_b32_e32 v1, v11
	v_mad_u64_u32 v[26:27], s[24:25], v26, 24, v[1:2]
	v_mov_b32_e32 v11, v26
	global_load_dwordx2 v[26:27], v[10:11], off glc
	s_waitcnt vmcnt(0)
	global_atomic_cmpswap_x2 v[10:11], v2, v[26:29], s[10:11] offset:24 glc
	s_waitcnt vmcnt(0)
	buffer_wbinvl1_vol
	v_cmp_eq_u64_e32 vcc, v[10:11], v[28:29]
	s_or_b64 s[22:23], vcc, s[22:23]
	s_andn2_b64 exec, exec, s[22:23]
	s_cbranch_execnz .LBB6_1747
; %bb.1748:                             ;   in Loop: Header=BB6_1681 Depth=1
	s_or_b64 exec, exec, s[22:23]
.LBB6_1749:                             ;   in Loop: Header=BB6_1681 Depth=1
	s_or_b64 exec, exec, s[20:21]
.LBB6_1750:                             ;   in Loop: Header=BB6_1681 Depth=1
	s_or_b64 exec, exec, s[18:19]
	global_load_dwordx2 v[31:32], v2, s[10:11] offset:40
	global_load_dwordx4 v[26:29], v2, s[10:11]
	v_readfirstlane_b32 s19, v11
	v_readfirstlane_b32 s18, v10
	s_mov_b64 s[20:21], exec
	s_waitcnt vmcnt(1)
	v_readfirstlane_b32 s22, v31
	v_readfirstlane_b32 s23, v32
	s_and_b64 s[22:23], s[22:23], s[18:19]
	s_mul_i32 s24, s23, 24
	s_mul_hi_u32 s25, s22, 24
	s_mul_i32 s40, s22, 24
	s_add_i32 s24, s25, s24
	v_mov_b32_e32 v1, s24
	s_waitcnt vmcnt(0)
	v_add_co_u32_e32 v31, vcc, s40, v26
	v_addc_co_u32_e32 v32, vcc, v27, v1, vcc
	s_and_saveexec_b64 s[24:25], s[6:7]
	s_cbranch_execz .LBB6_1752
; %bb.1751:                             ;   in Loop: Header=BB6_1681 Depth=1
	v_mov_b32_e32 v10, s20
	v_mov_b32_e32 v11, s21
	global_store_dwordx4 v[31:32], v[10:13], off offset:8
.LBB6_1752:                             ;   in Loop: Header=BB6_1681 Depth=1
	s_or_b64 exec, exec, s[24:25]
	s_lshl_b64 s[20:21], s[22:23], 12
	v_mov_b32_e32 v1, s21
	v_add_co_u32_e32 v28, vcc, s20, v28
	v_addc_co_u32_e32 v29, vcc, v29, v1, vcc
	v_cmp_lt_u64_e64 vcc, s[14:15], 57
	s_lshl_b32 s20, s16, 2
	v_cndmask_b32_e32 v1, 0, v37, vcc
	s_add_i32 s20, s20, 28
	v_and_b32_e32 v6, 0xffffff1f, v6
	s_and_b32 s20, s20, 0x1e0
	v_or_b32_e32 v1, v6, v1
	v_or_b32_e32 v6, s20, v1
	v_readfirstlane_b32 s20, v28
	v_readfirstlane_b32 s21, v29
	s_nop 4
	global_store_dwordx4 v34, v[6:9], s[20:21]
	global_store_dwordx4 v34, v[14:17], s[20:21] offset:16
	global_store_dwordx4 v34, v[18:21], s[20:21] offset:32
	;; [unrolled: 1-line block ×3, first 2 shown]
	s_and_saveexec_b64 s[20:21], s[6:7]
	s_cbranch_execz .LBB6_1760
; %bb.1753:                             ;   in Loop: Header=BB6_1681 Depth=1
	global_load_dwordx2 v[16:17], v2, s[10:11] offset:32 glc
	global_load_dwordx2 v[6:7], v2, s[10:11] offset:40
	v_mov_b32_e32 v14, s18
	v_mov_b32_e32 v15, s19
	s_waitcnt vmcnt(0)
	v_readfirstlane_b32 s22, v6
	v_readfirstlane_b32 s23, v7
	s_and_b64 s[22:23], s[22:23], s[18:19]
	s_mul_i32 s23, s23, 24
	s_mul_hi_u32 s24, s22, 24
	s_mul_i32 s22, s22, 24
	s_add_i32 s23, s24, s23
	v_mov_b32_e32 v1, s23
	v_add_co_u32_e32 v10, vcc, s22, v26
	v_addc_co_u32_e32 v11, vcc, v27, v1, vcc
	global_store_dwordx2 v[10:11], v[16:17], off
	s_waitcnt vmcnt(0)
	global_atomic_cmpswap_x2 v[8:9], v2, v[14:17], s[10:11] offset:32 glc
	s_waitcnt vmcnt(0)
	v_cmp_ne_u64_e32 vcc, v[8:9], v[16:17]
	s_and_saveexec_b64 s[22:23], vcc
	s_cbranch_execz .LBB6_1756
; %bb.1754:                             ;   in Loop: Header=BB6_1681 Depth=1
	s_mov_b64 s[24:25], 0
.LBB6_1755:                             ;   Parent Loop BB6_1681 Depth=1
                                        ; =>  This Inner Loop Header: Depth=2
	s_sleep 1
	global_store_dwordx2 v[10:11], v[8:9], off
	v_mov_b32_e32 v6, s18
	v_mov_b32_e32 v7, s19
	s_waitcnt vmcnt(0)
	global_atomic_cmpswap_x2 v[6:7], v2, v[6:9], s[10:11] offset:32 glc
	s_waitcnt vmcnt(0)
	v_cmp_eq_u64_e32 vcc, v[6:7], v[8:9]
	v_mov_b32_e32 v9, v7
	s_or_b64 s[24:25], vcc, s[24:25]
	v_mov_b32_e32 v8, v6
	s_andn2_b64 exec, exec, s[24:25]
	s_cbranch_execnz .LBB6_1755
.LBB6_1756:                             ;   in Loop: Header=BB6_1681 Depth=1
	s_or_b64 exec, exec, s[22:23]
	global_load_dwordx2 v[6:7], v2, s[10:11] offset:16
	s_mov_b64 s[24:25], exec
	v_mbcnt_lo_u32_b32 v1, s24, 0
	v_mbcnt_hi_u32_b32 v1, s25, v1
	v_cmp_eq_u32_e32 vcc, 0, v1
	s_and_saveexec_b64 s[22:23], vcc
	s_cbranch_execz .LBB6_1758
; %bb.1757:                             ;   in Loop: Header=BB6_1681 Depth=1
	s_bcnt1_i32_b64 s24, s[24:25]
	v_mov_b32_e32 v1, s24
	s_waitcnt vmcnt(0)
	global_atomic_add_x2 v[6:7], v[1:2], off offset:8
.LBB6_1758:                             ;   in Loop: Header=BB6_1681 Depth=1
	s_or_b64 exec, exec, s[22:23]
	s_waitcnt vmcnt(0)
	global_load_dwordx2 v[8:9], v[6:7], off offset:16
	s_waitcnt vmcnt(0)
	v_cmp_eq_u64_e32 vcc, 0, v[8:9]
	s_cbranch_vccnz .LBB6_1760
; %bb.1759:                             ;   in Loop: Header=BB6_1681 Depth=1
	global_load_dword v1, v[6:7], off offset:24
	s_waitcnt vmcnt(0)
	v_readfirstlane_b32 s22, v1
	s_and_b32 m0, s22, 0xffffff
	global_store_dwordx2 v[8:9], v[1:2], off
	s_sendmsg sendmsg(MSG_INTERRUPT)
.LBB6_1760:                             ;   in Loop: Header=BB6_1681 Depth=1
	s_or_b64 exec, exec, s[20:21]
	v_add_co_u32_e32 v6, vcc, v28, v34
	v_addc_co_u32_e32 v7, vcc, 0, v29, vcc
	s_branch .LBB6_1764
.LBB6_1761:                             ;   in Loop: Header=BB6_1764 Depth=2
	s_or_b64 exec, exec, s[20:21]
	v_readfirstlane_b32 s20, v1
	s_cmp_eq_u32 s20, 0
	s_cbranch_scc1 .LBB6_1763
; %bb.1762:                             ;   in Loop: Header=BB6_1764 Depth=2
	s_sleep 1
	s_cbranch_execnz .LBB6_1764
	s_branch .LBB6_1766
.LBB6_1763:                             ;   in Loop: Header=BB6_1681 Depth=1
	s_branch .LBB6_1766
.LBB6_1764:                             ;   Parent Loop BB6_1681 Depth=1
                                        ; =>  This Inner Loop Header: Depth=2
	v_mov_b32_e32 v1, 1
	s_and_saveexec_b64 s[20:21], s[6:7]
	s_cbranch_execz .LBB6_1761
; %bb.1765:                             ;   in Loop: Header=BB6_1764 Depth=2
	global_load_dword v1, v[31:32], off offset:20 glc
	s_waitcnt vmcnt(0)
	buffer_wbinvl1_vol
	v_and_b32_e32 v1, 1, v1
	s_branch .LBB6_1761
.LBB6_1766:                             ;   in Loop: Header=BB6_1681 Depth=1
	global_load_dwordx2 v[6:7], v[6:7], off
	s_and_saveexec_b64 s[20:21], s[6:7]
	s_cbranch_execz .LBB6_1680
; %bb.1767:                             ;   in Loop: Header=BB6_1681 Depth=1
	global_load_dwordx2 v[8:9], v2, s[10:11] offset:40
	global_load_dwordx2 v[18:19], v2, s[10:11] offset:24 glc
	global_load_dwordx2 v[10:11], v2, s[10:11]
	s_waitcnt vmcnt(2)
	v_readfirstlane_b32 s22, v8
	v_readfirstlane_b32 s23, v9
	s_add_u32 s24, s22, 1
	s_addc_u32 s25, s23, 0
	s_add_u32 s6, s24, s18
	s_addc_u32 s7, s25, s19
	s_cmp_eq_u64 s[6:7], 0
	s_cselect_b32 s7, s25, s7
	s_cselect_b32 s6, s24, s6
	s_and_b64 s[18:19], s[6:7], s[22:23]
	s_mul_i32 s19, s19, 24
	s_mul_hi_u32 s22, s18, 24
	s_mul_i32 s18, s18, 24
	s_add_i32 s19, s22, s19
	v_mov_b32_e32 v1, s19
	s_waitcnt vmcnt(0)
	v_add_co_u32_e32 v14, vcc, s18, v10
	v_addc_co_u32_e32 v15, vcc, v11, v1, vcc
	v_mov_b32_e32 v16, s6
	global_store_dwordx2 v[14:15], v[18:19], off
	v_mov_b32_e32 v17, s7
	s_waitcnt vmcnt(0)
	global_atomic_cmpswap_x2 v[10:11], v2, v[16:19], s[10:11] offset:24 glc
	s_waitcnt vmcnt(0)
	v_cmp_ne_u64_e32 vcc, v[10:11], v[18:19]
	s_and_b64 exec, exec, vcc
	s_cbranch_execz .LBB6_1680
; %bb.1768:                             ;   in Loop: Header=BB6_1681 Depth=1
	s_mov_b64 s[18:19], 0
.LBB6_1769:                             ;   Parent Loop BB6_1681 Depth=1
                                        ; =>  This Inner Loop Header: Depth=2
	s_sleep 1
	global_store_dwordx2 v[14:15], v[10:11], off
	v_mov_b32_e32 v8, s6
	v_mov_b32_e32 v9, s7
	s_waitcnt vmcnt(0)
	global_atomic_cmpswap_x2 v[8:9], v2, v[8:11], s[10:11] offset:24 glc
	s_waitcnt vmcnt(0)
	v_cmp_eq_u64_e32 vcc, v[8:9], v[10:11]
	v_mov_b32_e32 v11, v9
	s_or_b64 s[18:19], vcc, s[18:19]
	v_mov_b32_e32 v10, v8
	s_andn2_b64 exec, exec, s[18:19]
	s_cbranch_execnz .LBB6_1769
	s_branch .LBB6_1680
.LBB6_1770:
	s_mov_b64 s[6:7], 0
	s_branch .LBB6_1772
.LBB6_1771:
	s_mov_b64 s[6:7], -1
                                        ; implicit-def: $vgpr6_vgpr7
.LBB6_1772:
	s_and_b64 vcc, exec, s[6:7]
	s_cbranch_vccz .LBB6_1799
; %bb.1773:
	v_readfirstlane_b32 s6, v35
	v_mov_b32_e32 v1, 0
	v_mov_b32_e32 v2, 0
	v_cmp_eq_u32_e64 s[6:7], s6, v35
	s_and_saveexec_b64 s[12:13], s[6:7]
	s_cbranch_execz .LBB6_1779
; %bb.1774:
	s_waitcnt vmcnt(0)
	v_mov_b32_e32 v6, 0
	global_load_dwordx2 v[9:10], v6, s[10:11] offset:24 glc
	s_waitcnt vmcnt(0)
	buffer_wbinvl1_vol
	global_load_dwordx2 v[1:2], v6, s[10:11] offset:40
	global_load_dwordx2 v[7:8], v6, s[10:11]
	s_waitcnt vmcnt(1)
	v_and_b32_e32 v1, v1, v9
	v_and_b32_e32 v2, v2, v10
	v_mul_lo_u32 v2, v2, 24
	v_mul_hi_u32 v11, v1, 24
	v_mul_lo_u32 v1, v1, 24
	v_add_u32_e32 v2, v11, v2
	s_waitcnt vmcnt(0)
	v_add_co_u32_e32 v1, vcc, v7, v1
	v_addc_co_u32_e32 v2, vcc, v8, v2, vcc
	global_load_dwordx2 v[7:8], v[1:2], off glc
	s_waitcnt vmcnt(0)
	global_atomic_cmpswap_x2 v[1:2], v6, v[7:10], s[10:11] offset:24 glc
	s_waitcnt vmcnt(0)
	buffer_wbinvl1_vol
	v_cmp_ne_u64_e32 vcc, v[1:2], v[9:10]
	s_and_saveexec_b64 s[14:15], vcc
	s_cbranch_execz .LBB6_1778
; %bb.1775:
	s_mov_b64 s[16:17], 0
.LBB6_1776:                             ; =>This Inner Loop Header: Depth=1
	s_sleep 1
	global_load_dwordx2 v[7:8], v6, s[10:11] offset:40
	global_load_dwordx2 v[11:12], v6, s[10:11]
	v_mov_b32_e32 v10, v2
	v_mov_b32_e32 v9, v1
	s_waitcnt vmcnt(1)
	v_and_b32_e32 v1, v7, v9
	s_waitcnt vmcnt(0)
	v_mad_u64_u32 v[1:2], s[18:19], v1, 24, v[11:12]
	v_and_b32_e32 v7, v8, v10
	v_mad_u64_u32 v[7:8], s[18:19], v7, 24, v[2:3]
	v_mov_b32_e32 v2, v7
	global_load_dwordx2 v[7:8], v[1:2], off glc
	s_waitcnt vmcnt(0)
	global_atomic_cmpswap_x2 v[1:2], v6, v[7:10], s[10:11] offset:24 glc
	s_waitcnt vmcnt(0)
	buffer_wbinvl1_vol
	v_cmp_eq_u64_e32 vcc, v[1:2], v[9:10]
	s_or_b64 s[16:17], vcc, s[16:17]
	s_andn2_b64 exec, exec, s[16:17]
	s_cbranch_execnz .LBB6_1776
; %bb.1777:
	s_or_b64 exec, exec, s[16:17]
.LBB6_1778:
	s_or_b64 exec, exec, s[14:15]
.LBB6_1779:
	s_or_b64 exec, exec, s[12:13]
	s_waitcnt vmcnt(0)
	v_mov_b32_e32 v6, 0
	global_load_dwordx2 v[12:13], v6, s[10:11] offset:40
	global_load_dwordx4 v[8:11], v6, s[10:11]
	v_readfirstlane_b32 s13, v2
	v_readfirstlane_b32 s12, v1
	s_mov_b64 s[14:15], exec
	s_waitcnt vmcnt(1)
	v_readfirstlane_b32 s16, v12
	v_readfirstlane_b32 s17, v13
	s_and_b64 s[16:17], s[16:17], s[12:13]
	s_mul_i32 s18, s17, 24
	s_mul_hi_u32 s19, s16, 24
	s_mul_i32 s20, s16, 24
	s_add_i32 s18, s19, s18
	v_mov_b32_e32 v2, s18
	s_waitcnt vmcnt(0)
	v_add_co_u32_e32 v1, vcc, s20, v8
	v_addc_co_u32_e32 v2, vcc, v9, v2, vcc
	s_and_saveexec_b64 s[18:19], s[6:7]
	s_cbranch_execz .LBB6_1781
; %bb.1780:
	v_mov_b32_e32 v12, s14
	v_mov_b32_e32 v13, s15
	;; [unrolled: 1-line block ×4, first 2 shown]
	global_store_dwordx4 v[1:2], v[12:15], off offset:8
.LBB6_1781:
	s_or_b64 exec, exec, s[18:19]
	s_lshl_b64 s[14:15], s[16:17], 12
	v_mov_b32_e32 v7, s15
	v_add_co_u32_e32 v12, vcc, s14, v10
	v_addc_co_u32_e32 v13, vcc, v11, v7, vcc
	s_movk_i32 s14, 0xff1f
	v_and_or_b32 v4, v4, s14, 32
	s_mov_b32 s16, 0
	v_mov_b32_e32 v7, v6
	v_readfirstlane_b32 s14, v12
	v_readfirstlane_b32 s15, v13
	v_add_co_u32_e32 v10, vcc, v12, v34
	s_mov_b32 s17, s16
	s_mov_b32 s18, s16
	;; [unrolled: 1-line block ×3, first 2 shown]
	s_nop 0
	global_store_dwordx4 v34, v[4:7], s[14:15]
	v_addc_co_u32_e32 v11, vcc, 0, v13, vcc
	v_mov_b32_e32 v4, s16
	v_mov_b32_e32 v5, s17
	;; [unrolled: 1-line block ×4, first 2 shown]
	global_store_dwordx4 v34, v[4:7], s[14:15] offset:16
	global_store_dwordx4 v34, v[4:7], s[14:15] offset:32
	global_store_dwordx4 v34, v[4:7], s[14:15] offset:48
	s_and_saveexec_b64 s[14:15], s[6:7]
	s_cbranch_execz .LBB6_1789
; %bb.1782:
	v_mov_b32_e32 v12, 0
	global_load_dwordx2 v[15:16], v12, s[10:11] offset:32 glc
	global_load_dwordx2 v[4:5], v12, s[10:11] offset:40
	v_mov_b32_e32 v13, s12
	v_mov_b32_e32 v14, s13
	s_waitcnt vmcnt(0)
	v_readfirstlane_b32 s16, v4
	v_readfirstlane_b32 s17, v5
	s_and_b64 s[16:17], s[16:17], s[12:13]
	s_mul_i32 s17, s17, 24
	s_mul_hi_u32 s18, s16, 24
	s_mul_i32 s16, s16, 24
	s_add_i32 s17, s18, s17
	v_mov_b32_e32 v4, s17
	v_add_co_u32_e32 v8, vcc, s16, v8
	v_addc_co_u32_e32 v9, vcc, v9, v4, vcc
	global_store_dwordx2 v[8:9], v[15:16], off
	s_waitcnt vmcnt(0)
	global_atomic_cmpswap_x2 v[6:7], v12, v[13:16], s[10:11] offset:32 glc
	s_waitcnt vmcnt(0)
	v_cmp_ne_u64_e32 vcc, v[6:7], v[15:16]
	s_and_saveexec_b64 s[16:17], vcc
	s_cbranch_execz .LBB6_1785
; %bb.1783:
	s_mov_b64 s[18:19], 0
.LBB6_1784:                             ; =>This Inner Loop Header: Depth=1
	s_sleep 1
	global_store_dwordx2 v[8:9], v[6:7], off
	v_mov_b32_e32 v4, s12
	v_mov_b32_e32 v5, s13
	s_waitcnt vmcnt(0)
	global_atomic_cmpswap_x2 v[4:5], v12, v[4:7], s[10:11] offset:32 glc
	s_waitcnt vmcnt(0)
	v_cmp_eq_u64_e32 vcc, v[4:5], v[6:7]
	v_mov_b32_e32 v7, v5
	s_or_b64 s[18:19], vcc, s[18:19]
	v_mov_b32_e32 v6, v4
	s_andn2_b64 exec, exec, s[18:19]
	s_cbranch_execnz .LBB6_1784
.LBB6_1785:
	s_or_b64 exec, exec, s[16:17]
	v_mov_b32_e32 v7, 0
	global_load_dwordx2 v[4:5], v7, s[10:11] offset:16
	s_mov_b64 s[16:17], exec
	v_mbcnt_lo_u32_b32 v6, s16, 0
	v_mbcnt_hi_u32_b32 v6, s17, v6
	v_cmp_eq_u32_e32 vcc, 0, v6
	s_and_saveexec_b64 s[18:19], vcc
	s_cbranch_execz .LBB6_1787
; %bb.1786:
	s_bcnt1_i32_b64 s16, s[16:17]
	v_mov_b32_e32 v6, s16
	s_waitcnt vmcnt(0)
	global_atomic_add_x2 v[4:5], v[6:7], off offset:8
.LBB6_1787:
	s_or_b64 exec, exec, s[18:19]
	s_waitcnt vmcnt(0)
	global_load_dwordx2 v[6:7], v[4:5], off offset:16
	s_waitcnt vmcnt(0)
	v_cmp_eq_u64_e32 vcc, 0, v[6:7]
	s_cbranch_vccnz .LBB6_1789
; %bb.1788:
	global_load_dword v4, v[4:5], off offset:24
	v_mov_b32_e32 v5, 0
	s_waitcnt vmcnt(0)
	v_readfirstlane_b32 s16, v4
	s_and_b32 m0, s16, 0xffffff
	global_store_dwordx2 v[6:7], v[4:5], off
	s_sendmsg sendmsg(MSG_INTERRUPT)
.LBB6_1789:
	s_or_b64 exec, exec, s[14:15]
	s_branch .LBB6_1793
.LBB6_1790:                             ;   in Loop: Header=BB6_1793 Depth=1
	s_or_b64 exec, exec, s[14:15]
	v_readfirstlane_b32 s14, v4
	s_cmp_eq_u32 s14, 0
	s_cbranch_scc1 .LBB6_1792
; %bb.1791:                             ;   in Loop: Header=BB6_1793 Depth=1
	s_sleep 1
	s_cbranch_execnz .LBB6_1793
	s_branch .LBB6_1795
.LBB6_1792:
	s_branch .LBB6_1795
.LBB6_1793:                             ; =>This Inner Loop Header: Depth=1
	v_mov_b32_e32 v4, 1
	s_and_saveexec_b64 s[14:15], s[6:7]
	s_cbranch_execz .LBB6_1790
; %bb.1794:                             ;   in Loop: Header=BB6_1793 Depth=1
	global_load_dword v4, v[1:2], off offset:20 glc
	s_waitcnt vmcnt(0)
	buffer_wbinvl1_vol
	v_and_b32_e32 v4, 1, v4
	s_branch .LBB6_1790
.LBB6_1795:
	global_load_dwordx2 v[6:7], v[10:11], off
	s_and_saveexec_b64 s[14:15], s[6:7]
	s_cbranch_execz .LBB6_1798
; %bb.1796:
	v_mov_b32_e32 v4, 0
	global_load_dwordx2 v[1:2], v4, s[10:11] offset:40
	global_load_dwordx2 v[12:13], v4, s[10:11] offset:24 glc
	global_load_dwordx2 v[8:9], v4, s[10:11]
	s_waitcnt vmcnt(2)
	v_readfirstlane_b32 s16, v1
	v_readfirstlane_b32 s17, v2
	s_add_u32 s18, s16, 1
	s_addc_u32 s19, s17, 0
	s_add_u32 s6, s18, s12
	s_addc_u32 s7, s19, s13
	s_cmp_eq_u64 s[6:7], 0
	s_cselect_b32 s7, s19, s7
	s_cselect_b32 s6, s18, s6
	s_and_b64 s[12:13], s[6:7], s[16:17]
	s_mul_i32 s13, s13, 24
	s_mul_hi_u32 s16, s12, 24
	s_mul_i32 s12, s12, 24
	s_add_i32 s13, s16, s13
	v_mov_b32_e32 v2, s13
	s_waitcnt vmcnt(0)
	v_add_co_u32_e32 v1, vcc, s12, v8
	v_addc_co_u32_e32 v2, vcc, v9, v2, vcc
	v_mov_b32_e32 v10, s6
	global_store_dwordx2 v[1:2], v[12:13], off
	v_mov_b32_e32 v11, s7
	s_waitcnt vmcnt(0)
	global_atomic_cmpswap_x2 v[10:11], v4, v[10:13], s[10:11] offset:24 glc
	s_mov_b64 s[12:13], 0
	s_waitcnt vmcnt(0)
	v_cmp_ne_u64_e32 vcc, v[10:11], v[12:13]
	s_and_b64 exec, exec, vcc
	s_cbranch_execz .LBB6_1798
.LBB6_1797:                             ; =>This Inner Loop Header: Depth=1
	s_sleep 1
	global_store_dwordx2 v[1:2], v[10:11], off
	v_mov_b32_e32 v8, s6
	v_mov_b32_e32 v9, s7
	s_waitcnt vmcnt(0)
	global_atomic_cmpswap_x2 v[8:9], v4, v[8:11], s[10:11] offset:24 glc
	s_waitcnt vmcnt(0)
	v_cmp_eq_u64_e32 vcc, v[8:9], v[10:11]
	v_mov_b32_e32 v11, v9
	s_or_b64 s[12:13], vcc, s[12:13]
	v_mov_b32_e32 v10, v8
	s_andn2_b64 exec, exec, s[12:13]
	s_cbranch_execnz .LBB6_1797
.LBB6_1798:
	s_or_b64 exec, exec, s[14:15]
.LBB6_1799:
	v_readfirstlane_b32 s6, v35
	v_mov_b32_e32 v1, 0
	v_mov_b32_e32 v2, 0
	v_cmp_eq_u32_e64 s[6:7], s6, v35
	s_and_saveexec_b64 s[12:13], s[6:7]
	s_cbranch_execz .LBB6_1805
; %bb.1800:
	s_waitcnt vmcnt(0)
	v_mov_b32_e32 v4, 0
	global_load_dwordx2 v[10:11], v4, s[10:11] offset:24 glc
	s_waitcnt vmcnt(0)
	buffer_wbinvl1_vol
	global_load_dwordx2 v[1:2], v4, s[10:11] offset:40
	global_load_dwordx2 v[8:9], v4, s[10:11]
	s_waitcnt vmcnt(1)
	v_and_b32_e32 v1, v1, v10
	v_and_b32_e32 v2, v2, v11
	v_mul_lo_u32 v2, v2, 24
	v_mul_hi_u32 v5, v1, 24
	v_mul_lo_u32 v1, v1, 24
	v_add_u32_e32 v2, v5, v2
	s_waitcnt vmcnt(0)
	v_add_co_u32_e32 v1, vcc, v8, v1
	v_addc_co_u32_e32 v2, vcc, v9, v2, vcc
	global_load_dwordx2 v[8:9], v[1:2], off glc
	s_waitcnt vmcnt(0)
	global_atomic_cmpswap_x2 v[1:2], v4, v[8:11], s[10:11] offset:24 glc
	s_waitcnt vmcnt(0)
	buffer_wbinvl1_vol
	v_cmp_ne_u64_e32 vcc, v[1:2], v[10:11]
	s_and_saveexec_b64 s[14:15], vcc
	s_cbranch_execz .LBB6_1804
; %bb.1801:
	s_mov_b64 s[16:17], 0
.LBB6_1802:                             ; =>This Inner Loop Header: Depth=1
	s_sleep 1
	global_load_dwordx2 v[8:9], v4, s[10:11] offset:40
	global_load_dwordx2 v[12:13], v4, s[10:11]
	v_mov_b32_e32 v11, v2
	v_mov_b32_e32 v10, v1
	s_waitcnt vmcnt(1)
	v_and_b32_e32 v1, v8, v10
	s_waitcnt vmcnt(0)
	v_mad_u64_u32 v[1:2], s[18:19], v1, 24, v[12:13]
	v_and_b32_e32 v5, v9, v11
	v_mad_u64_u32 v[8:9], s[18:19], v5, 24, v[2:3]
	v_mov_b32_e32 v2, v8
	global_load_dwordx2 v[8:9], v[1:2], off glc
	s_waitcnt vmcnt(0)
	global_atomic_cmpswap_x2 v[1:2], v4, v[8:11], s[10:11] offset:24 glc
	s_waitcnt vmcnt(0)
	buffer_wbinvl1_vol
	v_cmp_eq_u64_e32 vcc, v[1:2], v[10:11]
	s_or_b64 s[16:17], vcc, s[16:17]
	s_andn2_b64 exec, exec, s[16:17]
	s_cbranch_execnz .LBB6_1802
; %bb.1803:
	s_or_b64 exec, exec, s[16:17]
.LBB6_1804:
	s_or_b64 exec, exec, s[14:15]
.LBB6_1805:
	s_or_b64 exec, exec, s[12:13]
	v_mov_b32_e32 v9, 0
	global_load_dwordx2 v[4:5], v9, s[10:11] offset:40
	global_load_dwordx4 v[10:13], v9, s[10:11]
	v_readfirstlane_b32 s13, v2
	v_readfirstlane_b32 s12, v1
	s_mov_b64 s[14:15], exec
	s_waitcnt vmcnt(1)
	v_readfirstlane_b32 s16, v4
	v_readfirstlane_b32 s17, v5
	s_and_b64 s[16:17], s[16:17], s[12:13]
	s_mul_i32 s18, s17, 24
	s_mul_hi_u32 s19, s16, 24
	s_mul_i32 s20, s16, 24
	s_add_i32 s18, s19, s18
	v_mov_b32_e32 v2, s18
	s_waitcnt vmcnt(0)
	v_add_co_u32_e32 v1, vcc, s20, v10
	v_addc_co_u32_e32 v2, vcc, v11, v2, vcc
	s_and_saveexec_b64 s[18:19], s[6:7]
	s_cbranch_execz .LBB6_1807
; %bb.1806:
	v_mov_b32_e32 v14, s14
	v_mov_b32_e32 v15, s15
	;; [unrolled: 1-line block ×4, first 2 shown]
	global_store_dwordx4 v[1:2], v[14:17], off offset:8
.LBB6_1807:
	s_or_b64 exec, exec, s[18:19]
	s_lshl_b64 s[14:15], s[16:17], 12
	v_mov_b32_e32 v4, s15
	v_add_co_u32_e32 v5, vcc, s14, v12
	v_addc_co_u32_e32 v4, vcc, v13, v4, vcc
	s_movk_i32 s14, 0xff1f
	v_and_or_b32 v6, v6, s14, 32
	v_add_co_u32_e32 v12, vcc, v5, v34
	v_mov_b32_e32 v8, v36
	v_readfirstlane_b32 s14, v5
	v_readfirstlane_b32 s15, v4
	s_mov_b32 s16, 0
	v_addc_co_u32_e32 v13, vcc, 0, v4, vcc
	s_mov_b32 s17, s16
	s_mov_b32 s18, s16
	s_nop 0
	global_store_dwordx4 v34, v[6:9], s[14:15]
	s_mov_b32 s19, s16
	v_mov_b32_e32 v4, s16
	v_mov_b32_e32 v5, s17
	v_mov_b32_e32 v6, s18
	v_mov_b32_e32 v7, s19
	global_store_dwordx4 v34, v[4:7], s[14:15] offset:16
	global_store_dwordx4 v34, v[4:7], s[14:15] offset:32
	;; [unrolled: 1-line block ×3, first 2 shown]
	s_and_saveexec_b64 s[14:15], s[6:7]
	s_cbranch_execz .LBB6_1815
; %bb.1808:
	v_mov_b32_e32 v14, 0
	global_load_dwordx2 v[17:18], v14, s[10:11] offset:32 glc
	global_load_dwordx2 v[4:5], v14, s[10:11] offset:40
	v_mov_b32_e32 v15, s12
	v_mov_b32_e32 v16, s13
	s_waitcnt vmcnt(0)
	v_readfirstlane_b32 s16, v4
	v_readfirstlane_b32 s17, v5
	s_and_b64 s[16:17], s[16:17], s[12:13]
	s_mul_i32 s17, s17, 24
	s_mul_hi_u32 s18, s16, 24
	s_mul_i32 s16, s16, 24
	s_add_i32 s17, s18, s17
	v_mov_b32_e32 v4, s17
	v_add_co_u32_e32 v8, vcc, s16, v10
	v_addc_co_u32_e32 v9, vcc, v11, v4, vcc
	global_store_dwordx2 v[8:9], v[17:18], off
	s_waitcnt vmcnt(0)
	global_atomic_cmpswap_x2 v[6:7], v14, v[15:18], s[10:11] offset:32 glc
	s_waitcnt vmcnt(0)
	v_cmp_ne_u64_e32 vcc, v[6:7], v[17:18]
	s_and_saveexec_b64 s[16:17], vcc
	s_cbranch_execz .LBB6_1811
; %bb.1809:
	s_mov_b64 s[18:19], 0
.LBB6_1810:                             ; =>This Inner Loop Header: Depth=1
	s_sleep 1
	global_store_dwordx2 v[8:9], v[6:7], off
	v_mov_b32_e32 v4, s12
	v_mov_b32_e32 v5, s13
	s_waitcnt vmcnt(0)
	global_atomic_cmpswap_x2 v[4:5], v14, v[4:7], s[10:11] offset:32 glc
	s_waitcnt vmcnt(0)
	v_cmp_eq_u64_e32 vcc, v[4:5], v[6:7]
	v_mov_b32_e32 v7, v5
	s_or_b64 s[18:19], vcc, s[18:19]
	v_mov_b32_e32 v6, v4
	s_andn2_b64 exec, exec, s[18:19]
	s_cbranch_execnz .LBB6_1810
.LBB6_1811:
	s_or_b64 exec, exec, s[16:17]
	v_mov_b32_e32 v7, 0
	global_load_dwordx2 v[4:5], v7, s[10:11] offset:16
	s_mov_b64 s[16:17], exec
	v_mbcnt_lo_u32_b32 v6, s16, 0
	v_mbcnt_hi_u32_b32 v6, s17, v6
	v_cmp_eq_u32_e32 vcc, 0, v6
	s_and_saveexec_b64 s[18:19], vcc
	s_cbranch_execz .LBB6_1813
; %bb.1812:
	s_bcnt1_i32_b64 s16, s[16:17]
	v_mov_b32_e32 v6, s16
	s_waitcnt vmcnt(0)
	global_atomic_add_x2 v[4:5], v[6:7], off offset:8
.LBB6_1813:
	s_or_b64 exec, exec, s[18:19]
	s_waitcnt vmcnt(0)
	global_load_dwordx2 v[6:7], v[4:5], off offset:16
	s_waitcnt vmcnt(0)
	v_cmp_eq_u64_e32 vcc, 0, v[6:7]
	s_cbranch_vccnz .LBB6_1815
; %bb.1814:
	global_load_dword v4, v[4:5], off offset:24
	v_mov_b32_e32 v5, 0
	s_waitcnt vmcnt(0)
	v_readfirstlane_b32 s16, v4
	s_and_b32 m0, s16, 0xffffff
	global_store_dwordx2 v[6:7], v[4:5], off
	s_sendmsg sendmsg(MSG_INTERRUPT)
.LBB6_1815:
	s_or_b64 exec, exec, s[14:15]
	s_branch .LBB6_1819
.LBB6_1816:                             ;   in Loop: Header=BB6_1819 Depth=1
	s_or_b64 exec, exec, s[14:15]
	v_readfirstlane_b32 s14, v4
	s_cmp_eq_u32 s14, 0
	s_cbranch_scc1 .LBB6_1818
; %bb.1817:                             ;   in Loop: Header=BB6_1819 Depth=1
	s_sleep 1
	s_cbranch_execnz .LBB6_1819
	s_branch .LBB6_1821
.LBB6_1818:
	s_branch .LBB6_1821
.LBB6_1819:                             ; =>This Inner Loop Header: Depth=1
	v_mov_b32_e32 v4, 1
	s_and_saveexec_b64 s[14:15], s[6:7]
	s_cbranch_execz .LBB6_1816
; %bb.1820:                             ;   in Loop: Header=BB6_1819 Depth=1
	global_load_dword v4, v[1:2], off offset:20 glc
	s_waitcnt vmcnt(0)
	buffer_wbinvl1_vol
	v_and_b32_e32 v4, 1, v4
	s_branch .LBB6_1816
.LBB6_1821:
	global_load_dwordx2 v[1:2], v[12:13], off
	s_and_saveexec_b64 s[14:15], s[6:7]
	s_cbranch_execz .LBB6_1824
; %bb.1822:
	v_mov_b32_e32 v10, 0
	global_load_dwordx2 v[4:5], v10, s[10:11] offset:40
	global_load_dwordx2 v[13:14], v10, s[10:11] offset:24 glc
	global_load_dwordx2 v[6:7], v10, s[10:11]
	s_waitcnt vmcnt(2)
	v_readfirstlane_b32 s16, v4
	v_readfirstlane_b32 s17, v5
	s_add_u32 s18, s16, 1
	s_addc_u32 s19, s17, 0
	s_add_u32 s6, s18, s12
	s_addc_u32 s7, s19, s13
	s_cmp_eq_u64 s[6:7], 0
	s_cselect_b32 s7, s19, s7
	s_cselect_b32 s6, s18, s6
	s_and_b64 s[12:13], s[6:7], s[16:17]
	s_mul_i32 s13, s13, 24
	s_mul_hi_u32 s16, s12, 24
	s_mul_i32 s12, s12, 24
	s_add_i32 s13, s16, s13
	v_mov_b32_e32 v4, s13
	s_waitcnt vmcnt(0)
	v_add_co_u32_e32 v8, vcc, s12, v6
	v_addc_co_u32_e32 v9, vcc, v7, v4, vcc
	v_mov_b32_e32 v11, s6
	global_store_dwordx2 v[8:9], v[13:14], off
	v_mov_b32_e32 v12, s7
	s_waitcnt vmcnt(0)
	global_atomic_cmpswap_x2 v[6:7], v10, v[11:14], s[10:11] offset:24 glc
	s_mov_b64 s[12:13], 0
	s_waitcnt vmcnt(0)
	v_cmp_ne_u64_e32 vcc, v[6:7], v[13:14]
	s_and_b64 exec, exec, vcc
	s_cbranch_execz .LBB6_1824
.LBB6_1823:                             ; =>This Inner Loop Header: Depth=1
	s_sleep 1
	global_store_dwordx2 v[8:9], v[6:7], off
	v_mov_b32_e32 v4, s6
	v_mov_b32_e32 v5, s7
	s_waitcnt vmcnt(0)
	global_atomic_cmpswap_x2 v[4:5], v10, v[4:7], s[10:11] offset:24 glc
	s_waitcnt vmcnt(0)
	v_cmp_eq_u64_e32 vcc, v[4:5], v[6:7]
	v_mov_b32_e32 v7, v5
	s_or_b64 s[12:13], vcc, s[12:13]
	v_mov_b32_e32 v6, v4
	s_andn2_b64 exec, exec, s[12:13]
	s_cbranch_execnz .LBB6_1823
.LBB6_1824:
	s_or_b64 exec, exec, s[14:15]
	v_readfirstlane_b32 s6, v35
	v_mov_b32_e32 v9, 0
	v_mov_b32_e32 v10, 0
	v_cmp_eq_u32_e64 s[6:7], s6, v35
	s_and_saveexec_b64 s[12:13], s[6:7]
	s_cbranch_execz .LBB6_1830
; %bb.1825:
	v_mov_b32_e32 v4, 0
	global_load_dwordx2 v[7:8], v4, s[10:11] offset:24 glc
	s_waitcnt vmcnt(0)
	buffer_wbinvl1_vol
	global_load_dwordx2 v[5:6], v4, s[10:11] offset:40
	global_load_dwordx2 v[9:10], v4, s[10:11]
	s_waitcnt vmcnt(1)
	v_and_b32_e32 v5, v5, v7
	v_and_b32_e32 v6, v6, v8
	v_mul_lo_u32 v6, v6, 24
	v_mul_hi_u32 v11, v5, 24
	v_mul_lo_u32 v5, v5, 24
	v_add_u32_e32 v6, v11, v6
	s_waitcnt vmcnt(0)
	v_add_co_u32_e32 v5, vcc, v9, v5
	v_addc_co_u32_e32 v6, vcc, v10, v6, vcc
	global_load_dwordx2 v[5:6], v[5:6], off glc
	s_waitcnt vmcnt(0)
	global_atomic_cmpswap_x2 v[9:10], v4, v[5:8], s[10:11] offset:24 glc
	s_waitcnt vmcnt(0)
	buffer_wbinvl1_vol
	v_cmp_ne_u64_e32 vcc, v[9:10], v[7:8]
	s_and_saveexec_b64 s[14:15], vcc
	s_cbranch_execz .LBB6_1829
; %bb.1826:
	s_mov_b64 s[16:17], 0
.LBB6_1827:                             ; =>This Inner Loop Header: Depth=1
	s_sleep 1
	global_load_dwordx2 v[5:6], v4, s[10:11] offset:40
	global_load_dwordx2 v[11:12], v4, s[10:11]
	v_mov_b32_e32 v7, v9
	v_mov_b32_e32 v8, v10
	s_waitcnt vmcnt(1)
	v_and_b32_e32 v5, v5, v7
	s_waitcnt vmcnt(0)
	v_mad_u64_u32 v[9:10], s[18:19], v5, 24, v[11:12]
	v_and_b32_e32 v6, v6, v8
	v_mov_b32_e32 v5, v10
	v_mad_u64_u32 v[5:6], s[18:19], v6, 24, v[5:6]
	v_mov_b32_e32 v10, v5
	global_load_dwordx2 v[5:6], v[9:10], off glc
	s_waitcnt vmcnt(0)
	global_atomic_cmpswap_x2 v[9:10], v4, v[5:8], s[10:11] offset:24 glc
	s_waitcnt vmcnt(0)
	buffer_wbinvl1_vol
	v_cmp_eq_u64_e32 vcc, v[9:10], v[7:8]
	s_or_b64 s[16:17], vcc, s[16:17]
	s_andn2_b64 exec, exec, s[16:17]
	s_cbranch_execnz .LBB6_1827
; %bb.1828:
	s_or_b64 exec, exec, s[16:17]
.LBB6_1829:
	s_or_b64 exec, exec, s[14:15]
.LBB6_1830:
	s_or_b64 exec, exec, s[12:13]
	v_mov_b32_e32 v4, 0
	global_load_dwordx2 v[11:12], v4, s[10:11] offset:40
	global_load_dwordx4 v[5:8], v4, s[10:11]
	v_readfirstlane_b32 s13, v10
	v_readfirstlane_b32 s12, v9
	s_mov_b64 s[14:15], exec
	s_waitcnt vmcnt(1)
	v_readfirstlane_b32 s16, v11
	v_readfirstlane_b32 s17, v12
	s_and_b64 s[16:17], s[16:17], s[12:13]
	s_mul_i32 s18, s17, 24
	s_mul_hi_u32 s19, s16, 24
	s_mul_i32 s20, s16, 24
	s_add_i32 s18, s19, s18
	v_mov_b32_e32 v10, s18
	s_waitcnt vmcnt(0)
	v_add_co_u32_e32 v9, vcc, s20, v5
	v_addc_co_u32_e32 v10, vcc, v6, v10, vcc
	s_and_saveexec_b64 s[18:19], s[6:7]
	s_cbranch_execz .LBB6_1832
; %bb.1831:
	v_mov_b32_e32 v11, s14
	v_mov_b32_e32 v12, s15
	;; [unrolled: 1-line block ×4, first 2 shown]
	global_store_dwordx4 v[9:10], v[11:14], off offset:8
.LBB6_1832:
	s_or_b64 exec, exec, s[18:19]
	s_lshl_b64 s[14:15], s[16:17], 12
	v_mov_b32_e32 v11, s15
	v_add_co_u32_e32 v7, vcc, s14, v7
	v_addc_co_u32_e32 v8, vcc, v8, v11, vcc
	s_movk_i32 s14, 0xff1d
	v_and_or_b32 v1, v1, s14, 34
	v_readfirstlane_b32 s14, v7
	v_readfirstlane_b32 s15, v8
	s_mov_b32 s16, 0
	s_mov_b32 s17, s16
	s_mov_b32 s18, s16
	s_mov_b32 s19, s16
	s_nop 0
	global_store_dwordx4 v34, v[1:4], s[14:15]
	s_nop 0
	v_mov_b32_e32 v1, s16
	v_mov_b32_e32 v2, s17
	;; [unrolled: 1-line block ×4, first 2 shown]
	global_store_dwordx4 v34, v[1:4], s[14:15] offset:16
	global_store_dwordx4 v34, v[1:4], s[14:15] offset:32
	;; [unrolled: 1-line block ×3, first 2 shown]
	s_and_saveexec_b64 s[14:15], s[6:7]
	s_cbranch_execz .LBB6_1840
; %bb.1833:
	v_mov_b32_e32 v7, 0
	global_load_dwordx2 v[13:14], v7, s[10:11] offset:32 glc
	global_load_dwordx2 v[1:2], v7, s[10:11] offset:40
	v_mov_b32_e32 v11, s12
	v_mov_b32_e32 v12, s13
	s_waitcnt vmcnt(0)
	v_readfirstlane_b32 s16, v1
	v_readfirstlane_b32 s17, v2
	s_and_b64 s[16:17], s[16:17], s[12:13]
	s_mul_i32 s17, s17, 24
	s_mul_hi_u32 s18, s16, 24
	s_mul_i32 s16, s16, 24
	s_add_i32 s17, s18, s17
	v_mov_b32_e32 v1, s17
	v_add_co_u32_e32 v5, vcc, s16, v5
	v_addc_co_u32_e32 v6, vcc, v6, v1, vcc
	global_store_dwordx2 v[5:6], v[13:14], off
	s_waitcnt vmcnt(0)
	global_atomic_cmpswap_x2 v[3:4], v7, v[11:14], s[10:11] offset:32 glc
	s_waitcnt vmcnt(0)
	v_cmp_ne_u64_e32 vcc, v[3:4], v[13:14]
	s_and_saveexec_b64 s[16:17], vcc
	s_cbranch_execz .LBB6_1836
; %bb.1834:
	s_mov_b64 s[18:19], 0
.LBB6_1835:                             ; =>This Inner Loop Header: Depth=1
	s_sleep 1
	global_store_dwordx2 v[5:6], v[3:4], off
	v_mov_b32_e32 v1, s12
	v_mov_b32_e32 v2, s13
	s_waitcnt vmcnt(0)
	global_atomic_cmpswap_x2 v[1:2], v7, v[1:4], s[10:11] offset:32 glc
	s_waitcnt vmcnt(0)
	v_cmp_eq_u64_e32 vcc, v[1:2], v[3:4]
	v_mov_b32_e32 v4, v2
	s_or_b64 s[18:19], vcc, s[18:19]
	v_mov_b32_e32 v3, v1
	s_andn2_b64 exec, exec, s[18:19]
	s_cbranch_execnz .LBB6_1835
.LBB6_1836:
	s_or_b64 exec, exec, s[16:17]
	v_mov_b32_e32 v4, 0
	global_load_dwordx2 v[1:2], v4, s[10:11] offset:16
	s_mov_b64 s[16:17], exec
	v_mbcnt_lo_u32_b32 v3, s16, 0
	v_mbcnt_hi_u32_b32 v3, s17, v3
	v_cmp_eq_u32_e32 vcc, 0, v3
	s_and_saveexec_b64 s[18:19], vcc
	s_cbranch_execz .LBB6_1838
; %bb.1837:
	s_bcnt1_i32_b64 s16, s[16:17]
	v_mov_b32_e32 v3, s16
	s_waitcnt vmcnt(0)
	global_atomic_add_x2 v[1:2], v[3:4], off offset:8
.LBB6_1838:
	s_or_b64 exec, exec, s[18:19]
	s_waitcnt vmcnt(0)
	global_load_dwordx2 v[3:4], v[1:2], off offset:16
	s_waitcnt vmcnt(0)
	v_cmp_eq_u64_e32 vcc, 0, v[3:4]
	s_cbranch_vccnz .LBB6_1840
; %bb.1839:
	global_load_dword v1, v[1:2], off offset:24
	v_mov_b32_e32 v2, 0
	s_waitcnt vmcnt(0)
	v_readfirstlane_b32 s16, v1
	s_and_b32 m0, s16, 0xffffff
	global_store_dwordx2 v[3:4], v[1:2], off
	s_sendmsg sendmsg(MSG_INTERRUPT)
.LBB6_1840:
	s_or_b64 exec, exec, s[14:15]
	s_branch .LBB6_1844
.LBB6_1841:                             ;   in Loop: Header=BB6_1844 Depth=1
	s_or_b64 exec, exec, s[14:15]
	v_readfirstlane_b32 s14, v1
	s_cmp_eq_u32 s14, 0
	s_cbranch_scc1 .LBB6_1843
; %bb.1842:                             ;   in Loop: Header=BB6_1844 Depth=1
	s_sleep 1
	s_cbranch_execnz .LBB6_1844
	s_branch .LBB6_1846
.LBB6_1843:
	s_branch .LBB6_1846
.LBB6_1844:                             ; =>This Inner Loop Header: Depth=1
	v_mov_b32_e32 v1, 1
	s_and_saveexec_b64 s[14:15], s[6:7]
	s_cbranch_execz .LBB6_1841
; %bb.1845:                             ;   in Loop: Header=BB6_1844 Depth=1
	global_load_dword v1, v[9:10], off offset:20 glc
	s_waitcnt vmcnt(0)
	buffer_wbinvl1_vol
	v_and_b32_e32 v1, 1, v1
	s_branch .LBB6_1841
.LBB6_1846:
	s_and_b64 exec, exec, s[6:7]
	s_cbranch_execz .LBB6_1849
; %bb.1847:
	v_mov_b32_e32 v7, 0
	global_load_dwordx2 v[1:2], v7, s[10:11] offset:40
	global_load_dwordx2 v[10:11], v7, s[10:11] offset:24 glc
	global_load_dwordx2 v[3:4], v7, s[10:11]
	s_waitcnt vmcnt(2)
	v_readfirstlane_b32 s14, v1
	v_readfirstlane_b32 s15, v2
	s_add_u32 s16, s14, 1
	s_addc_u32 s17, s15, 0
	s_add_u32 s6, s16, s12
	s_addc_u32 s7, s17, s13
	s_cmp_eq_u64 s[6:7], 0
	s_cselect_b32 s7, s17, s7
	s_cselect_b32 s6, s16, s6
	s_and_b64 s[12:13], s[6:7], s[14:15]
	s_mul_i32 s13, s13, 24
	s_mul_hi_u32 s14, s12, 24
	s_mul_i32 s12, s12, 24
	s_add_i32 s13, s14, s13
	v_mov_b32_e32 v1, s13
	s_waitcnt vmcnt(0)
	v_add_co_u32_e32 v5, vcc, s12, v3
	v_addc_co_u32_e32 v6, vcc, v4, v1, vcc
	v_mov_b32_e32 v8, s6
	global_store_dwordx2 v[5:6], v[10:11], off
	v_mov_b32_e32 v9, s7
	s_waitcnt vmcnt(0)
	global_atomic_cmpswap_x2 v[3:4], v7, v[8:11], s[10:11] offset:24 glc
	s_mov_b64 s[12:13], 0
	s_waitcnt vmcnt(0)
	v_cmp_ne_u64_e32 vcc, v[3:4], v[10:11]
	s_and_b64 exec, exec, vcc
	s_cbranch_execz .LBB6_1849
.LBB6_1848:                             ; =>This Inner Loop Header: Depth=1
	s_sleep 1
	global_store_dwordx2 v[5:6], v[3:4], off
	v_mov_b32_e32 v1, s6
	v_mov_b32_e32 v2, s7
	s_waitcnt vmcnt(0)
	global_atomic_cmpswap_x2 v[1:2], v7, v[1:4], s[10:11] offset:24 glc
	s_waitcnt vmcnt(0)
	v_cmp_eq_u64_e32 vcc, v[1:2], v[3:4]
	v_mov_b32_e32 v4, v2
	s_or_b64 s[12:13], vcc, s[12:13]
	v_mov_b32_e32 v3, v1
	s_andn2_b64 exec, exec, s[12:13]
	s_cbranch_execnz .LBB6_1848
.LBB6_1849:
	s_or_b64 exec, exec, s[8:9]
	v_or_b32_e32 v0, v0, v41
	v_cmp_lt_i32_e32 vcc, -1, v0
	s_xor_b64 s[4:5], s[4:5], -1
	s_and_b64 s[4:5], vcc, s[4:5]
	s_mov_b64 s[40:41], 0
                                        ; implicit-def: $vgpr41
	s_and_saveexec_b64 s[6:7], s[4:5]
	s_xor_b64 s[4:5], exec, s[6:7]
	s_cbranch_execz .LBB6_1851
; %bb.1850:
	flat_load_dword v0, v[42:43]
	v_lshl_or_b32 v29, v33, 1, 1
	s_mov_b64 s[40:41], exec
	s_waitcnt vmcnt(0) lgkmcnt(0)
	v_ashrrev_i32_e32 v1, 31, v0
	v_add_u32_e32 v2, 1, v0
	flat_store_dword v[42:43], v2
	v_lshlrev_b64 v[1:2], 3, v[0:1]
	v_lshl_or_b32 v41, v0, 1, 1
	v_add_co_u32_e32 v1, vcc, v42, v1
	v_addc_co_u32_e32 v2, vcc, v43, v2, vcc
	flat_store_dwordx2 v[1:2], v[29:30] offset:8
.LBB6_1851:
	s_or_saveexec_b64 s[42:43], s[4:5]
	s_mov_b64 s[4:5], s[26:27]
	s_xor_b64 exec, exec, s[42:43]
	s_cbranch_execz .LBB6_1853
; %bb.1852:
	s_getpc_b64 s[4:5]
	s_add_u32 s4, s4, .str.46@rel32@lo+4
	s_addc_u32 s5, s5, .str.46@rel32@hi+12
	s_getpc_b64 s[6:7]
	s_add_u32 s6, s6, .str.44@rel32@lo+4
	s_addc_u32 s7, s7, .str.44@rel32@hi+12
	s_getpc_b64 s[10:11]
	s_add_u32 s10, s10, __PRETTY_FUNCTION__._ZN8subgUtil18formAndNodeKeyFlagEiii@rel32@lo+4
	s_addc_u32 s11, s11, __PRETTY_FUNCTION__._ZN8subgUtil18formAndNodeKeyFlagEiii@rel32@hi+12
	s_getpc_b64 s[12:13]
	s_add_u32 s12, s12, __assert_fail@rel32@lo+4
	s_addc_u32 s13, s13, __assert_fail@rel32@hi+12
	s_mov_b64 s[8:9], s[64:65]
	v_mov_b32_e32 v0, s4
	v_mov_b32_e32 v1, s5
	;; [unrolled: 1-line block ×7, first 2 shown]
	s_swappc_b64 s[30:31], s[12:13]
	s_or_b64 s[4:5], s[26:27], exec
.LBB6_1853:
	s_or_b64 exec, exec, s[42:43]
	s_andn2_b64 s[6:7], s[26:27], exec
	s_and_b64 s[4:5], s[4:5], exec
	s_or_b64 s[26:27], s[6:7], s[4:5]
	s_and_b64 s[4:5], s[40:41], exec
.LBB6_1854:
	s_or_b64 exec, exec, s[28:29]
	s_andn2_b64 s[6:7], s[36:37], exec
	s_and_b64 s[8:9], s[26:27], exec
	s_or_b64 s[6:7], s[6:7], s[8:9]
	s_orn2_b64 s[4:5], s[4:5], exec
.LBB6_1855:
	s_or_b64 exec, exec, s[50:51]
	s_andn2_b64 s[8:9], s[36:37], exec
	s_and_b64 s[6:7], s[6:7], exec
	s_or_b64 s[28:29], s[8:9], s[6:7]
	s_andn2_b64 s[6:7], s[38:39], exec
	s_and_b64 s[4:5], s[4:5], exec
	s_or_b64 s[26:27], s[6:7], s[4:5]
.LBB6_1856:
	s_andn2_saveexec_b64 s[40:41], s[48:49]
	s_cbranch_execz .LBB6_1858
; %bb.1857:
	s_getpc_b64 s[4:5]
	s_add_u32 s4, s4, .str.46@rel32@lo+4
	s_addc_u32 s5, s5, .str.46@rel32@hi+12
	s_getpc_b64 s[6:7]
	s_add_u32 s6, s6, .str.44@rel32@lo+4
	s_addc_u32 s7, s7, .str.44@rel32@hi+12
	s_getpc_b64 s[10:11]
	s_add_u32 s10, s10, __PRETTY_FUNCTION__._ZN8subgUtil18formAndNodeKeyFlagEiii@rel32@lo+4
	s_addc_u32 s11, s11, __PRETTY_FUNCTION__._ZN8subgUtil18formAndNodeKeyFlagEiii@rel32@hi+12
	s_getpc_b64 s[12:13]
	s_add_u32 s12, s12, __assert_fail@rel32@lo+4
	s_addc_u32 s13, s13, __assert_fail@rel32@hi+12
	s_mov_b64 s[8:9], s[64:65]
	v_mov_b32_e32 v0, s4
	v_mov_b32_e32 v1, s5
	;; [unrolled: 1-line block ×7, first 2 shown]
	s_swappc_b64 s[30:31], s[12:13]
	s_or_b64 s[28:29], s[28:29], exec
.LBB6_1858:
	s_or_b64 exec, exec, s[40:41]
	s_andn2_b64 s[4:5], s[36:37], exec
	s_and_b64 s[6:7], s[28:29], exec
	s_or_b64 s[36:37], s[4:5], s[6:7]
	s_andn2_b64 s[4:5], s[38:39], exec
	s_and_b64 s[6:7], s[26:27], exec
	s_or_b64 s[6:7], s[4:5], s[6:7]
	v_readlane_b32 s4, v62, 20
	s_mov_b64 s[48:49], s[38:39]
	v_readlane_b32 s5, v62, 21
.LBB6_1859:
	s_or_b64 exec, exec, s[4:5]
	s_andn2_b64 s[4:5], s[34:35], exec
	s_and_b64 s[8:9], s[36:37], exec
	s_or_b64 s[34:35], s[4:5], s[8:9]
	s_andn2_b64 s[4:5], s[48:49], exec
	s_and_b64 s[6:7], s[6:7], exec
	s_or_b64 s[48:49], s[4:5], s[6:7]
	v_readlane_b32 s44, v62, 24
	v_readlane_b32 s46, v62, 22
	;; [unrolled: 1-line block ×17, first 2 shown]
	s_mov_b64 s[74:75], s[54:55]
	s_mov_b64 s[42:43], s[84:85]
	v_readlane_b32 s45, v62, 25
	v_readlane_b32 s47, v62, 23
	s_mov_b64 s[28:29], s[86:87]
	v_readlane_b32 s61, v62, 19
	s_mov_b64 s[62:63], s[96:97]
	v_readlane_b32 s41, v62, 15
	v_readlane_b32 s73, v62, 13
	s_mov_b64 s[76:77], 0
	v_readlane_b32 s79, v62, 29
	v_readlane_b32 s89, v62, 9
	v_readlane_b32 s27, v62, 31
	v_readlane_b32 s91, v62, 11
	v_readlane_b32 s93, v62, 37
	v_readlane_b32 s57, v62, 5
	v_readlane_b32 s95, v62, 33
	v_readlane_b32 s59, v62, 3
	v_readlane_b32 s37, v62, 35
	v_readlane_b32 s5, v62, 7
	v_readlane_b32 s7, v62, 1
	v_readlane_b32 s9, v62, 27
.LBB6_1860:
	s_or_b64 exec, exec, s[8:9]
	s_andn2_b64 s[4:5], s[4:5], exec
	s_and_b64 s[8:9], s[34:35], exec
	s_or_b64 s[4:5], s[4:5], s[8:9]
	s_and_b64 s[8:9], s[48:49], exec
.LBB6_1861:
	s_or_b64 exec, exec, s[6:7]
	s_andn2_b64 s[6:7], s[58:59], exec
	s_and_b64 s[4:5], s[4:5], exec
	s_or_b64 s[58:59], s[6:7], s[4:5]
	s_and_b64 s[4:5], s[8:9], exec
.LBB6_1862:
	s_or_b64 exec, exec, s[36:37]
	s_andn2_b64 s[6:7], s[56:57], exec
	s_and_b64 s[8:9], s[58:59], exec
	s_or_b64 s[56:57], s[6:7], s[8:9]
	s_and_b64 s[6:7], s[4:5], exec
.LBB6_1863:
	s_or_b64 exec, exec, s[94:95]
	s_andn2_b64 s[4:5], s[26:27], exec
	s_and_b64 s[8:9], s[56:57], exec
	s_or_b64 s[58:59], s[4:5], s[8:9]
	s_and_b64 s[56:57], s[6:7], exec
.LBB6_1864:
	s_andn2_saveexec_b64 s[92:93], s[92:93]
	s_cbranch_execz .LBB6_1866
; %bb.1865:
	s_getpc_b64 s[4:5]
	s_add_u32 s4, s4, .str.39@rel32@lo+4
	s_addc_u32 s5, s5, .str.39@rel32@hi+12
	s_getpc_b64 s[6:7]
	s_add_u32 s6, s6, .str.31@rel32@lo+4
	s_addc_u32 s7, s7, .str.31@rel32@hi+12
	s_getpc_b64 s[10:11]
	s_add_u32 s10, s10, __PRETTY_FUNCTION__._ZN3sop17sopDivideInternalEPNS_3SopES1_S1_S1_P7VecsMemIjLi8192EE@rel32@lo+4
	s_addc_u32 s11, s11, __PRETTY_FUNCTION__._ZN3sop17sopDivideInternalEPNS_3SopES1_S1_S1_P7VecsMemIjLi8192EE@rel32@hi+12
	s_getpc_b64 s[12:13]
	s_add_u32 s12, s12, __assert_fail@rel32@lo+4
	s_addc_u32 s13, s13, __assert_fail@rel32@hi+12
	s_mov_b64 s[8:9], s[64:65]
	v_mov_b32_e32 v0, s4
	v_mov_b32_e32 v1, s5
	;; [unrolled: 1-line block ×7, first 2 shown]
	s_swappc_b64 s[30:31], s[12:13]
	s_or_b64 s[58:59], s[58:59], exec
.LBB6_1866:
	s_or_b64 exec, exec, s[92:93]
	s_andn2_b64 s[4:5], s[26:27], exec
	s_and_b64 s[6:7], s[58:59], exec
	s_or_b64 s[26:27], s[4:5], s[6:7]
	s_and_b64 s[6:7], s[56:57], exec
.LBB6_1867:
	s_or_b64 exec, exec, s[90:91]
	s_andn2_b64 s[4:5], s[40:41], exec
	s_and_b64 s[8:9], s[26:27], exec
	s_or_b64 s[56:57], s[4:5], s[8:9]
	s_and_b64 s[26:27], s[6:7], exec
.LBB6_1868:
	s_andn2_saveexec_b64 s[58:59], s[88:89]
	s_cbranch_execz .LBB6_1870
; %bb.1869:
	s_getpc_b64 s[4:5]
	s_add_u32 s4, s4, .str.38@rel32@lo+4
	s_addc_u32 s5, s5, .str.38@rel32@hi+12
	s_getpc_b64 s[6:7]
	s_add_u32 s6, s6, .str.31@rel32@lo+4
	s_addc_u32 s7, s7, .str.31@rel32@hi+12
	s_getpc_b64 s[10:11]
	s_add_u32 s10, s10, __PRETTY_FUNCTION__._ZN3sop17sopDivideInternalEPNS_3SopES1_S1_S1_P7VecsMemIjLi8192EE@rel32@lo+4
	s_addc_u32 s11, s11, __PRETTY_FUNCTION__._ZN3sop17sopDivideInternalEPNS_3SopES1_S1_S1_P7VecsMemIjLi8192EE@rel32@hi+12
	s_getpc_b64 s[12:13]
	s_add_u32 s12, s12, __assert_fail@rel32@lo+4
	s_addc_u32 s13, s13, __assert_fail@rel32@hi+12
	s_mov_b64 s[8:9], s[64:65]
	v_mov_b32_e32 v0, s4
	v_mov_b32_e32 v1, s5
	v_mov_b32_e32 v2, s6
	v_mov_b32_e32 v3, s7
	v_mov_b32_e32 v4, 0x101
	v_mov_b32_e32 v5, s10
	v_mov_b32_e32 v6, s11
	s_swappc_b64 s[30:31], s[12:13]
	s_or_b64 s[56:57], s[56:57], exec
.LBB6_1870:
	s_or_b64 exec, exec, s[58:59]
	s_andn2_b64 s[4:5], s[40:41], exec
	s_and_b64 s[6:7], s[56:57], exec
	s_or_b64 s[56:57], s[4:5], s[6:7]
	s_and_b64 s[58:59], s[26:27], exec
                                        ; implicit-def: $vgpr19_vgpr20
                                        ; implicit-def: $vgpr56
                                        ; implicit-def: $vgpr58_vgpr59
                                        ; implicit-def: $vgpr44_vgpr45
                                        ; implicit-def: $vgpr42_vgpr43
                                        ; implicit-def: $vgpr47
                                        ; implicit-def: $vgpr53_vgpr54
.LBB6_1871:
	s_or_saveexec_b64 s[78:79], s[78:79]
	s_mov_b64 s[88:89], 0
	s_xor_b64 exec, exec, s[78:79]
	s_cbranch_execz .LBB6_2416
; %bb.1872:
	v_mov_b32_e32 v2, -1
	s_and_saveexec_b64 s[8:9], s[74:75]
	s_cbranch_execz .LBB6_1882
; %bb.1873:
	s_waitcnt vmcnt(0)
	flat_load_dword v2, v[19:20]
	s_mov_b32 s16, 0
	s_waitcnt lgkmcnt(0)
	v_cmp_lt_i32_e32 vcc, 0, v56
	v_mov_b32_e32 v3, -1
	s_mov_b64 s[10:11], 0
	v_mov_b32_e32 v4, -1
	s_branch .LBB6_1876
.LBB6_1874:                             ;   in Loop: Header=BB6_1876 Depth=1
	s_or_b64 exec, exec, s[6:7]
	v_cmp_lt_u32_e64 s[4:5], 1, v5
	v_cmp_lt_i32_e64 s[6:7], v3, v5
	v_mov_b32_e32 v0, s16
	s_and_b64 s[4:5], s[4:5], s[6:7]
	v_cndmask_b32_e64 v4, v4, v0, s[4:5]
	v_cndmask_b32_e64 v3, v3, v5, s[4:5]
.LBB6_1875:                             ;   in Loop: Header=BB6_1876 Depth=1
	s_or_b64 exec, exec, s[12:13]
	s_add_i32 s16, s16, 1
	v_cmp_eq_u32_e64 s[4:5], s16, v47
	s_or_b64 s[10:11], s[4:5], s[10:11]
	s_andn2_b64 exec, exec, s[10:11]
	s_cbranch_execz .LBB6_1881
.LBB6_1876:                             ; =>This Loop Header: Depth=1
                                        ;     Child Loop BB6_1879 Depth 2
	s_waitcnt vmcnt(0)
	v_lshrrev_b32_e32 v0, s16, v2
	v_and_b32_e32 v0, 1, v0
	v_cmp_eq_u32_e64 s[4:5], 1, v0
	s_and_saveexec_b64 s[12:13], s[4:5]
	s_cbranch_execz .LBB6_1875
; %bb.1877:                             ;   in Loop: Header=BB6_1876 Depth=1
	v_mov_b32_e32 v5, 0
	s_and_saveexec_b64 s[6:7], vcc
	s_cbranch_execz .LBB6_1874
; %bb.1878:                             ;   in Loop: Header=BB6_1876 Depth=1
	v_mov_b32_e32 v0, v58
	v_mov_b32_e32 v5, 0
	s_mov_b64 s[14:15], 0
	v_mov_b32_e32 v1, v59
	v_mov_b32_e32 v6, v56
.LBB6_1879:                             ;   Parent Loop BB6_1876 Depth=1
                                        ; =>  This Inner Loop Header: Depth=2
	flat_load_dword v7, v[0:1]
	v_add_co_u32_e64 v0, s[4:5], 4, v0
	v_add_u32_e32 v6, -1, v6
	v_addc_co_u32_e64 v1, s[4:5], 0, v1, s[4:5]
	v_cmp_eq_u32_e64 s[4:5], 0, v6
	s_or_b64 s[14:15], s[4:5], s[14:15]
	s_waitcnt vmcnt(0) lgkmcnt(0)
	v_bfe_u32 v7, v7, s16, 1
	v_add_u32_e32 v5, v7, v5
	s_andn2_b64 exec, exec, s[14:15]
	s_cbranch_execnz .LBB6_1879
; %bb.1880:                             ;   in Loop: Header=BB6_1876 Depth=1
	s_or_b64 exec, exec, s[14:15]
	s_branch .LBB6_1874
.LBB6_1881:
	s_or_b64 exec, exec, s[10:11]
	v_cmp_lt_i32_e32 vcc, -1, v3
	v_cndmask_b32_e32 v2, -1, v4, vcc
.LBB6_1882:
	s_or_b64 exec, exec, s[8:9]
	flat_load_dword v0, v[44:45]
	s_movk_i32 s10, 0x2000
	s_mov_b64 s[4:5], 0
	s_mov_b64 s[6:7], -1
	s_mov_b64 s[8:9], s[58:59]
                                        ; implicit-def: $vgpr41
	s_waitcnt vmcnt(0) lgkmcnt(0)
	v_cmp_gt_i32_e32 vcc, s10, v0
	s_mov_b64 s[10:11], s[56:57]
	s_and_saveexec_b64 s[54:55], vcc
	s_cbranch_execz .LBB6_2415
; %bb.1883:
	v_add_u32_e32 v1, 1, v0
	flat_store_dword v[44:45], v1
	v_ashrrev_i32_e32 v1, 31, v0
	v_lshlrev_b64 v[0:1], 2, v[0:1]
	v_lshlrev_b32_e64 v4, v2, 1
	v_add_co_u32_e32 v15, vcc, v44, v0
	v_addc_co_u32_e32 v16, vcc, v45, v1, vcc
	flat_store_dword v[15:16], v4 offset:4
	flat_load_dword v55, v[53:54] offset:4
	v_mov_b32_e32 v60, 0
	v_mov_b32_e32 v0, 0
	;; [unrolled: 1-line block ×3, first 2 shown]
	s_mov_b64 s[84:85], s[56:57]
	buffer_store_dword v0, off, s[0:3], s33 offset:92
	s_waitcnt vmcnt(0) lgkmcnt(0)
	v_cmp_lt_i32_e64 s[26:27], 0, v55
	s_and_saveexec_b64 s[74:75], s[26:27]
	s_cbranch_execz .LBB6_2035
; %bb.1884:
	flat_load_dword v0, v[44:45]
	s_movk_i32 s4, 0x2001
	v_mov_b32_e32 v60, 0
	v_mov_b32_e32 v61, 0
	s_mov_b64 s[76:77], 0
	s_waitcnt vmcnt(0) lgkmcnt(0)
	v_add_u32_e32 v0, v0, v55
	v_cmp_gt_i32_e32 vcc, s4, v0
	s_and_saveexec_b64 s[4:5], vcc
	s_xor_b64 s[4:5], exec, s[4:5]
	s_cbranch_execz .LBB6_1886
; %bb.1885:
	v_ashrrev_i32_e32 v1, 31, v0
	flat_store_dword v[44:45], v0
	v_lshlrev_b64 v[0:1], 2, v[0:1]
	v_mov_b32_e32 v56, 0
	v_add_co_u32_e32 v2, vcc, v44, v0
	v_addc_co_u32_e32 v3, vcc, v45, v1, vcc
	v_lshlrev_b64 v[0:1], 2, v[55:56]
	s_mov_b64 s[76:77], exec
	v_sub_co_u32_e32 v0, vcc, v2, v0
	v_subb_co_u32_e32 v1, vcc, v3, v1, vcc
	v_add_co_u32_e32 v60, vcc, 4, v0
	v_addc_co_u32_e32 v61, vcc, 0, v1, vcc
.LBB6_1886:
	s_or_saveexec_b64 s[88:89], s[4:5]
	s_mov_b64 s[4:5], s[56:57]
	s_xor_b64 exec, exec, s[88:89]
	s_cbranch_execz .LBB6_2034
; %bb.1887:
	s_load_dwordx2 s[6:7], s[64:65], 0x50
	v_mbcnt_lo_u32_b32 v0, -1, 0
	v_mbcnt_hi_u32_b32 v30, -1, v0
	v_readfirstlane_b32 s4, v30
	v_mov_b32_e32 v5, 0
	v_mov_b32_e32 v41, v4
	;; [unrolled: 1-line block ×3, first 2 shown]
	v_cmp_eq_u32_e64 s[4:5], s4, v30
	s_and_saveexec_b64 s[8:9], s[4:5]
	s_cbranch_execz .LBB6_1893
; %bb.1888:
	v_mov_b32_e32 v0, 0
	s_waitcnt lgkmcnt(0)
	global_load_dwordx2 v[3:4], v0, s[6:7] offset:24 glc
	s_waitcnt vmcnt(0)
	buffer_wbinvl1_vol
	global_load_dwordx2 v[1:2], v0, s[6:7] offset:40
	global_load_dwordx2 v[5:6], v0, s[6:7]
	s_waitcnt vmcnt(1)
	v_and_b32_e32 v1, v1, v3
	v_and_b32_e32 v2, v2, v4
	v_mul_lo_u32 v2, v2, 24
	v_mul_hi_u32 v7, v1, 24
	v_mul_lo_u32 v1, v1, 24
	v_add_u32_e32 v2, v7, v2
	s_waitcnt vmcnt(0)
	v_add_co_u32_e32 v1, vcc, v5, v1
	v_addc_co_u32_e32 v2, vcc, v6, v2, vcc
	global_load_dwordx2 v[1:2], v[1:2], off glc
	s_waitcnt vmcnt(0)
	global_atomic_cmpswap_x2 v[5:6], v0, v[1:4], s[6:7] offset:24 glc
	s_waitcnt vmcnt(0)
	buffer_wbinvl1_vol
	v_cmp_ne_u64_e32 vcc, v[5:6], v[3:4]
	s_and_saveexec_b64 s[10:11], vcc
	s_cbranch_execz .LBB6_1892
; %bb.1889:
	s_mov_b64 s[12:13], 0
.LBB6_1890:                             ; =>This Inner Loop Header: Depth=1
	s_sleep 1
	global_load_dwordx2 v[1:2], v0, s[6:7] offset:40
	global_load_dwordx2 v[7:8], v0, s[6:7]
	v_mov_b32_e32 v3, v5
	v_mov_b32_e32 v4, v6
	s_waitcnt vmcnt(1)
	v_and_b32_e32 v1, v1, v3
	s_waitcnt vmcnt(0)
	v_mad_u64_u32 v[5:6], s[14:15], v1, 24, v[7:8]
	v_and_b32_e32 v2, v2, v4
	v_mov_b32_e32 v1, v6
	v_mad_u64_u32 v[1:2], s[14:15], v2, 24, v[1:2]
	v_mov_b32_e32 v6, v1
	global_load_dwordx2 v[1:2], v[5:6], off glc
	s_waitcnt vmcnt(0)
	global_atomic_cmpswap_x2 v[5:6], v0, v[1:4], s[6:7] offset:24 glc
	s_waitcnt vmcnt(0)
	buffer_wbinvl1_vol
	v_cmp_eq_u64_e32 vcc, v[5:6], v[3:4]
	s_or_b64 s[12:13], vcc, s[12:13]
	s_andn2_b64 exec, exec, s[12:13]
	s_cbranch_execnz .LBB6_1890
; %bb.1891:
	s_or_b64 exec, exec, s[12:13]
.LBB6_1892:
	s_or_b64 exec, exec, s[10:11]
.LBB6_1893:
	s_or_b64 exec, exec, s[8:9]
	v_mov_b32_e32 v4, 0
	s_waitcnt lgkmcnt(0)
	global_load_dwordx2 v[7:8], v4, s[6:7] offset:40
	global_load_dwordx4 v[0:3], v4, s[6:7]
	v_readfirstlane_b32 s9, v6
	v_readfirstlane_b32 s8, v5
	s_mov_b64 s[10:11], exec
	s_waitcnt vmcnt(0)
	v_readfirstlane_b32 s12, v7
	v_readfirstlane_b32 s13, v8
	s_and_b64 s[12:13], s[12:13], s[8:9]
	s_mul_i32 s14, s13, 24
	s_mul_hi_u32 s15, s12, 24
	s_mul_i32 s16, s12, 24
	s_add_i32 s14, s15, s14
	v_mov_b32_e32 v5, s14
	v_add_co_u32_e32 v7, vcc, s16, v0
	v_addc_co_u32_e32 v8, vcc, v1, v5, vcc
	s_and_saveexec_b64 s[14:15], s[4:5]
	s_cbranch_execz .LBB6_1895
; %bb.1894:
	v_mov_b32_e32 v9, s10
	v_mov_b32_e32 v10, s11
	;; [unrolled: 1-line block ×4, first 2 shown]
	global_store_dwordx4 v[7:8], v[9:12], off offset:8
.LBB6_1895:
	s_or_b64 exec, exec, s[14:15]
	s_lshl_b64 s[10:11], s[12:13], 12
	v_mov_b32_e32 v5, s11
	v_add_co_u32_e32 v2, vcc, s10, v2
	v_addc_co_u32_e32 v11, vcc, v3, v5, vcc
	v_lshlrev_b32_e32 v29, 6, v30
	s_mov_b32 s12, 0
	v_mov_b32_e32 v3, 33
	v_mov_b32_e32 v5, v4
	;; [unrolled: 1-line block ×3, first 2 shown]
	v_readfirstlane_b32 s10, v2
	v_readfirstlane_b32 s11, v11
	v_add_co_u32_e32 v9, vcc, v2, v29
	s_mov_b32 s13, s12
	s_mov_b32 s14, s12
	;; [unrolled: 1-line block ×3, first 2 shown]
	s_nop 0
	global_store_dwordx4 v29, v[3:6], s[10:11]
	v_mov_b32_e32 v2, s12
	v_addc_co_u32_e32 v10, vcc, 0, v11, vcc
	v_mov_b32_e32 v3, s13
	v_mov_b32_e32 v4, s14
	;; [unrolled: 1-line block ×3, first 2 shown]
	global_store_dwordx4 v29, v[2:5], s[10:11] offset:16
	global_store_dwordx4 v29, v[2:5], s[10:11] offset:32
	;; [unrolled: 1-line block ×3, first 2 shown]
	s_and_saveexec_b64 s[10:11], s[4:5]
	s_cbranch_execz .LBB6_1903
; %bb.1896:
	v_mov_b32_e32 v6, 0
	global_load_dwordx2 v[13:14], v6, s[6:7] offset:32 glc
	global_load_dwordx2 v[2:3], v6, s[6:7] offset:40
	v_mov_b32_e32 v11, s8
	v_mov_b32_e32 v12, s9
	s_waitcnt vmcnt(0)
	v_and_b32_e32 v2, s8, v2
	v_and_b32_e32 v3, s9, v3
	v_mul_lo_u32 v3, v3, 24
	v_mul_hi_u32 v4, v2, 24
	v_mul_lo_u32 v2, v2, 24
	v_add_u32_e32 v3, v4, v3
	v_add_co_u32_e32 v4, vcc, v0, v2
	v_addc_co_u32_e32 v5, vcc, v1, v3, vcc
	global_store_dwordx2 v[4:5], v[13:14], off
	s_waitcnt vmcnt(0)
	global_atomic_cmpswap_x2 v[2:3], v6, v[11:14], s[6:7] offset:32 glc
	s_waitcnt vmcnt(0)
	v_cmp_ne_u64_e32 vcc, v[2:3], v[13:14]
	s_and_saveexec_b64 s[12:13], vcc
	s_cbranch_execz .LBB6_1899
; %bb.1897:
	s_mov_b64 s[14:15], 0
.LBB6_1898:                             ; =>This Inner Loop Header: Depth=1
	s_sleep 1
	global_store_dwordx2 v[4:5], v[2:3], off
	v_mov_b32_e32 v0, s8
	v_mov_b32_e32 v1, s9
	s_waitcnt vmcnt(0)
	global_atomic_cmpswap_x2 v[0:1], v6, v[0:3], s[6:7] offset:32 glc
	s_waitcnt vmcnt(0)
	v_cmp_eq_u64_e32 vcc, v[0:1], v[2:3]
	v_mov_b32_e32 v3, v1
	s_or_b64 s[14:15], vcc, s[14:15]
	v_mov_b32_e32 v2, v0
	s_andn2_b64 exec, exec, s[14:15]
	s_cbranch_execnz .LBB6_1898
.LBB6_1899:
	s_or_b64 exec, exec, s[12:13]
	v_mov_b32_e32 v3, 0
	global_load_dwordx2 v[0:1], v3, s[6:7] offset:16
	s_mov_b64 s[12:13], exec
	v_mbcnt_lo_u32_b32 v2, s12, 0
	v_mbcnt_hi_u32_b32 v2, s13, v2
	v_cmp_eq_u32_e32 vcc, 0, v2
	s_and_saveexec_b64 s[14:15], vcc
	s_cbranch_execz .LBB6_1901
; %bb.1900:
	s_bcnt1_i32_b64 s12, s[12:13]
	v_mov_b32_e32 v2, s12
	s_waitcnt vmcnt(0)
	global_atomic_add_x2 v[0:1], v[2:3], off offset:8
.LBB6_1901:
	s_or_b64 exec, exec, s[14:15]
	s_waitcnt vmcnt(0)
	global_load_dwordx2 v[2:3], v[0:1], off offset:16
	s_waitcnt vmcnt(0)
	v_cmp_eq_u64_e32 vcc, 0, v[2:3]
	s_cbranch_vccnz .LBB6_1903
; %bb.1902:
	global_load_dword v0, v[0:1], off offset:24
	v_mov_b32_e32 v1, 0
	s_waitcnt vmcnt(0)
	v_readfirstlane_b32 s12, v0
	s_and_b32 m0, s12, 0xffffff
	global_store_dwordx2 v[2:3], v[0:1], off
	s_sendmsg sendmsg(MSG_INTERRUPT)
.LBB6_1903:
	s_or_b64 exec, exec, s[10:11]
	s_branch .LBB6_1907
.LBB6_1904:                             ;   in Loop: Header=BB6_1907 Depth=1
	s_or_b64 exec, exec, s[10:11]
	v_readfirstlane_b32 s10, v0
	s_cmp_eq_u32 s10, 0
	s_cbranch_scc1 .LBB6_1906
; %bb.1905:                             ;   in Loop: Header=BB6_1907 Depth=1
	s_sleep 1
	s_cbranch_execnz .LBB6_1907
	s_branch .LBB6_1909
.LBB6_1906:
	s_branch .LBB6_1909
.LBB6_1907:                             ; =>This Inner Loop Header: Depth=1
	v_mov_b32_e32 v0, 1
	s_and_saveexec_b64 s[10:11], s[4:5]
	s_cbranch_execz .LBB6_1904
; %bb.1908:                             ;   in Loop: Header=BB6_1907 Depth=1
	global_load_dword v0, v[7:8], off offset:20 glc
	s_waitcnt vmcnt(0)
	buffer_wbinvl1_vol
	v_and_b32_e32 v0, 1, v0
	s_branch .LBB6_1904
.LBB6_1909:
	global_load_dwordx2 v[0:1], v[9:10], off
	s_and_saveexec_b64 s[10:11], s[4:5]
	s_cbranch_execz .LBB6_1912
; %bb.1910:
	v_mov_b32_e32 v8, 0
	global_load_dwordx2 v[2:3], v8, s[6:7] offset:40
	global_load_dwordx2 v[11:12], v8, s[6:7] offset:24 glc
	global_load_dwordx2 v[4:5], v8, s[6:7]
	s_waitcnt vmcnt(2)
	v_readfirstlane_b32 s12, v2
	v_readfirstlane_b32 s13, v3
	s_add_u32 s14, s12, 1
	s_addc_u32 s15, s13, 0
	s_add_u32 s4, s14, s8
	s_addc_u32 s5, s15, s9
	s_cmp_eq_u64 s[4:5], 0
	s_cselect_b32 s5, s15, s5
	s_cselect_b32 s4, s14, s4
	s_and_b64 s[8:9], s[4:5], s[12:13]
	s_mul_i32 s9, s9, 24
	s_mul_hi_u32 s12, s8, 24
	s_mul_i32 s8, s8, 24
	s_add_i32 s9, s12, s9
	v_mov_b32_e32 v2, s9
	s_waitcnt vmcnt(0)
	v_add_co_u32_e32 v6, vcc, s8, v4
	v_addc_co_u32_e32 v7, vcc, v5, v2, vcc
	v_mov_b32_e32 v9, s4
	global_store_dwordx2 v[6:7], v[11:12], off
	v_mov_b32_e32 v10, s5
	s_waitcnt vmcnt(0)
	global_atomic_cmpswap_x2 v[4:5], v8, v[9:12], s[6:7] offset:24 glc
	s_mov_b64 s[8:9], 0
	s_waitcnt vmcnt(0)
	v_cmp_ne_u64_e32 vcc, v[4:5], v[11:12]
	s_and_b64 exec, exec, vcc
	s_cbranch_execz .LBB6_1912
.LBB6_1911:                             ; =>This Inner Loop Header: Depth=1
	s_sleep 1
	global_store_dwordx2 v[6:7], v[4:5], off
	v_mov_b32_e32 v2, s4
	v_mov_b32_e32 v3, s5
	s_waitcnt vmcnt(0)
	global_atomic_cmpswap_x2 v[2:3], v8, v[2:5], s[6:7] offset:24 glc
	s_waitcnt vmcnt(0)
	v_cmp_eq_u64_e32 vcc, v[2:3], v[4:5]
	v_mov_b32_e32 v5, v3
	s_or_b64 s[8:9], vcc, s[8:9]
	v_mov_b32_e32 v4, v2
	s_andn2_b64 exec, exec, s[8:9]
	s_cbranch_execnz .LBB6_1911
.LBB6_1912:
	s_or_b64 exec, exec, s[10:11]
	v_mov_b32_e32 v57, v16
	s_getpc_b64 s[8:9]
	s_add_u32 s8, s8, .str.28@rel32@lo+4
	s_addc_u32 s9, s9, .str.28@rel32@hi+12
	v_mov_b32_e32 v56, v15
	s_cmp_lg_u64 s[8:9], 0
	s_cbranch_scc0 .LBB6_2005
; %bb.1913:
	s_waitcnt vmcnt(0)
	v_and_b32_e32 v6, -3, v0
	v_mov_b32_e32 v7, v1
	s_mov_b64 s[10:11], 35
	v_mov_b32_e32 v26, 0
	v_mov_b32_e32 v4, 2
	;; [unrolled: 1-line block ×3, first 2 shown]
	s_branch .LBB6_1915
.LBB6_1914:                             ;   in Loop: Header=BB6_1915 Depth=1
	s_or_b64 exec, exec, s[16:17]
	s_sub_u32 s10, s10, s12
	s_subb_u32 s11, s11, s13
	s_add_u32 s8, s8, s12
	s_addc_u32 s9, s9, s13
	s_cmp_lg_u64 s[10:11], 0
	s_cbranch_scc0 .LBB6_2004
.LBB6_1915:                             ; =>This Loop Header: Depth=1
                                        ;     Child Loop BB6_1918 Depth 2
                                        ;     Child Loop BB6_1927 Depth 2
	;; [unrolled: 1-line block ×11, first 2 shown]
	v_cmp_lt_u64_e64 s[4:5], s[10:11], 56
	v_cmp_gt_u64_e64 s[14:15], s[10:11], 7
	s_and_b64 s[4:5], s[4:5], exec
	s_cselect_b32 s13, s11, 0
	s_cselect_b32 s12, s10, 56
	s_add_u32 s4, s8, 8
	s_addc_u32 s5, s9, 0
	s_and_b64 vcc, exec, s[14:15]
	s_cbranch_vccnz .LBB6_1919
; %bb.1916:                             ;   in Loop: Header=BB6_1915 Depth=1
	s_cmp_eq_u64 s[10:11], 0
	s_cbranch_scc1 .LBB6_1920
; %bb.1917:                             ;   in Loop: Header=BB6_1915 Depth=1
	s_waitcnt vmcnt(0)
	v_mov_b32_e32 v8, 0
	s_lshl_b64 s[4:5], s[12:13], 3
	s_mov_b64 s[14:15], 0
	v_mov_b32_e32 v9, 0
	s_mov_b64 s[16:17], s[8:9]
.LBB6_1918:                             ;   Parent Loop BB6_1915 Depth=1
                                        ; =>  This Inner Loop Header: Depth=2
	global_load_ubyte v2, v26, s[16:17]
	s_waitcnt vmcnt(0)
	v_and_b32_e32 v25, 0xffff, v2
	v_lshlrev_b64 v[2:3], s14, v[25:26]
	s_add_u32 s14, s14, 8
	s_addc_u32 s15, s15, 0
	s_add_u32 s16, s16, 1
	s_addc_u32 s17, s17, 0
	v_or_b32_e32 v8, v2, v8
	s_cmp_lg_u32 s4, s14
	v_or_b32_e32 v9, v3, v9
	s_cbranch_scc1 .LBB6_1918
	s_branch .LBB6_1921
.LBB6_1919:                             ;   in Loop: Header=BB6_1915 Depth=1
	s_mov_b64 s[14:15], -1
	s_branch .LBB6_1922
.LBB6_1920:                             ;   in Loop: Header=BB6_1915 Depth=1
	s_waitcnt vmcnt(0)
	v_mov_b32_e32 v8, 0
	v_mov_b32_e32 v9, 0
.LBB6_1921:                             ;   in Loop: Header=BB6_1915 Depth=1
	s_mov_b64 s[14:15], 0
	s_mov_b64 s[4:5], s[8:9]
.LBB6_1922:                             ;   in Loop: Header=BB6_1915 Depth=1
	s_andn2_b64 vcc, exec, s[14:15]
	s_mov_b32 s18, 0
	s_cbranch_vccnz .LBB6_1924
; %bb.1923:                             ;   in Loop: Header=BB6_1915 Depth=1
	global_load_dwordx2 v[8:9], v26, s[8:9]
	s_add_i32 s18, s12, -8
.LBB6_1924:                             ;   in Loop: Header=BB6_1915 Depth=1
	s_add_u32 s14, s4, 8
	s_addc_u32 s15, s5, 0
	s_cmp_gt_u32 s18, 7
	s_cbranch_scc1 .LBB6_1928
; %bb.1925:                             ;   in Loop: Header=BB6_1915 Depth=1
	s_cmp_eq_u32 s18, 0
	s_cbranch_scc1 .LBB6_1929
; %bb.1926:                             ;   in Loop: Header=BB6_1915 Depth=1
	v_mov_b32_e32 v10, 0
	s_mov_b64 s[14:15], 0
	v_mov_b32_e32 v11, 0
	s_mov_b64 s[16:17], 0
.LBB6_1927:                             ;   Parent Loop BB6_1915 Depth=1
                                        ; =>  This Inner Loop Header: Depth=2
	s_add_u32 s20, s4, s16
	s_addc_u32 s21, s5, s17
	global_load_ubyte v2, v26, s[20:21]
	s_add_u32 s16, s16, 1
	s_addc_u32 s17, s17, 0
	s_waitcnt vmcnt(0)
	v_and_b32_e32 v25, 0xffff, v2
	v_lshlrev_b64 v[2:3], s14, v[25:26]
	s_add_u32 s14, s14, 8
	s_addc_u32 s15, s15, 0
	v_or_b32_e32 v10, v2, v10
	s_cmp_lg_u32 s18, s16
	v_or_b32_e32 v11, v3, v11
	s_cbranch_scc1 .LBB6_1927
	s_branch .LBB6_1930
.LBB6_1928:                             ;   in Loop: Header=BB6_1915 Depth=1
	s_mov_b64 s[16:17], -1
                                        ; implicit-def: $vgpr10_vgpr11
	s_branch .LBB6_1931
.LBB6_1929:                             ;   in Loop: Header=BB6_1915 Depth=1
	v_mov_b32_e32 v10, 0
	v_mov_b32_e32 v11, 0
.LBB6_1930:                             ;   in Loop: Header=BB6_1915 Depth=1
	s_mov_b64 s[16:17], 0
	s_mov_b64 s[14:15], s[4:5]
.LBB6_1931:                             ;   in Loop: Header=BB6_1915 Depth=1
	s_andn2_b64 vcc, exec, s[16:17]
	s_mov_b32 s19, 0
	s_cbranch_vccnz .LBB6_1933
; %bb.1932:                             ;   in Loop: Header=BB6_1915 Depth=1
	global_load_dwordx2 v[10:11], v26, s[4:5]
	s_add_i32 s19, s18, -8
.LBB6_1933:                             ;   in Loop: Header=BB6_1915 Depth=1
	s_add_u32 s4, s14, 8
	s_addc_u32 s5, s15, 0
	s_cmp_gt_u32 s19, 7
	s_cbranch_scc1 .LBB6_1937
; %bb.1934:                             ;   in Loop: Header=BB6_1915 Depth=1
	s_cmp_eq_u32 s19, 0
	s_cbranch_scc1 .LBB6_1938
; %bb.1935:                             ;   in Loop: Header=BB6_1915 Depth=1
	v_mov_b32_e32 v12, 0
	s_mov_b64 s[4:5], 0
	v_mov_b32_e32 v13, 0
	s_mov_b64 s[16:17], 0
.LBB6_1936:                             ;   Parent Loop BB6_1915 Depth=1
                                        ; =>  This Inner Loop Header: Depth=2
	s_add_u32 s20, s14, s16
	s_addc_u32 s21, s15, s17
	global_load_ubyte v2, v26, s[20:21]
	s_add_u32 s16, s16, 1
	s_addc_u32 s17, s17, 0
	s_waitcnt vmcnt(0)
	v_and_b32_e32 v25, 0xffff, v2
	v_lshlrev_b64 v[2:3], s4, v[25:26]
	s_add_u32 s4, s4, 8
	s_addc_u32 s5, s5, 0
	v_or_b32_e32 v12, v2, v12
	s_cmp_lg_u32 s19, s16
	v_or_b32_e32 v13, v3, v13
	s_cbranch_scc1 .LBB6_1936
	s_branch .LBB6_1939
.LBB6_1937:                             ;   in Loop: Header=BB6_1915 Depth=1
	s_mov_b64 s[16:17], -1
	s_branch .LBB6_1940
.LBB6_1938:                             ;   in Loop: Header=BB6_1915 Depth=1
	v_mov_b32_e32 v12, 0
	v_mov_b32_e32 v13, 0
.LBB6_1939:                             ;   in Loop: Header=BB6_1915 Depth=1
	s_mov_b64 s[16:17], 0
	s_mov_b64 s[4:5], s[14:15]
.LBB6_1940:                             ;   in Loop: Header=BB6_1915 Depth=1
	s_andn2_b64 vcc, exec, s[16:17]
	s_mov_b32 s18, 0
	s_cbranch_vccnz .LBB6_1942
; %bb.1941:                             ;   in Loop: Header=BB6_1915 Depth=1
	global_load_dwordx2 v[12:13], v26, s[14:15]
	s_add_i32 s18, s19, -8
.LBB6_1942:                             ;   in Loop: Header=BB6_1915 Depth=1
	s_add_u32 s14, s4, 8
	s_addc_u32 s15, s5, 0
	s_cmp_gt_u32 s18, 7
	s_cbranch_scc1 .LBB6_1946
; %bb.1943:                             ;   in Loop: Header=BB6_1915 Depth=1
	s_cmp_eq_u32 s18, 0
	s_cbranch_scc1 .LBB6_1947
; %bb.1944:                             ;   in Loop: Header=BB6_1915 Depth=1
	v_mov_b32_e32 v14, 0
	s_mov_b64 s[14:15], 0
	v_mov_b32_e32 v15, 0
	s_mov_b64 s[16:17], 0
.LBB6_1945:                             ;   Parent Loop BB6_1915 Depth=1
                                        ; =>  This Inner Loop Header: Depth=2
	s_add_u32 s20, s4, s16
	s_addc_u32 s21, s5, s17
	global_load_ubyte v2, v26, s[20:21]
	s_add_u32 s16, s16, 1
	s_addc_u32 s17, s17, 0
	s_waitcnt vmcnt(0)
	v_and_b32_e32 v25, 0xffff, v2
	v_lshlrev_b64 v[2:3], s14, v[25:26]
	s_add_u32 s14, s14, 8
	s_addc_u32 s15, s15, 0
	v_or_b32_e32 v14, v2, v14
	s_cmp_lg_u32 s18, s16
	v_or_b32_e32 v15, v3, v15
	s_cbranch_scc1 .LBB6_1945
	s_branch .LBB6_1948
.LBB6_1946:                             ;   in Loop: Header=BB6_1915 Depth=1
	s_mov_b64 s[16:17], -1
                                        ; implicit-def: $vgpr14_vgpr15
	s_branch .LBB6_1949
.LBB6_1947:                             ;   in Loop: Header=BB6_1915 Depth=1
	v_mov_b32_e32 v14, 0
	v_mov_b32_e32 v15, 0
.LBB6_1948:                             ;   in Loop: Header=BB6_1915 Depth=1
	s_mov_b64 s[16:17], 0
	s_mov_b64 s[14:15], s[4:5]
.LBB6_1949:                             ;   in Loop: Header=BB6_1915 Depth=1
	s_andn2_b64 vcc, exec, s[16:17]
	s_mov_b32 s19, 0
	s_cbranch_vccnz .LBB6_1951
; %bb.1950:                             ;   in Loop: Header=BB6_1915 Depth=1
	global_load_dwordx2 v[14:15], v26, s[4:5]
	s_add_i32 s19, s18, -8
.LBB6_1951:                             ;   in Loop: Header=BB6_1915 Depth=1
	s_add_u32 s4, s14, 8
	s_addc_u32 s5, s15, 0
	s_cmp_gt_u32 s19, 7
	s_cbranch_scc1 .LBB6_1955
; %bb.1952:                             ;   in Loop: Header=BB6_1915 Depth=1
	s_cmp_eq_u32 s19, 0
	s_cbranch_scc1 .LBB6_1956
; %bb.1953:                             ;   in Loop: Header=BB6_1915 Depth=1
	v_mov_b32_e32 v16, 0
	s_mov_b64 s[4:5], 0
	v_mov_b32_e32 v17, 0
	s_mov_b64 s[16:17], 0
.LBB6_1954:                             ;   Parent Loop BB6_1915 Depth=1
                                        ; =>  This Inner Loop Header: Depth=2
	s_add_u32 s20, s14, s16
	s_addc_u32 s21, s15, s17
	global_load_ubyte v2, v26, s[20:21]
	s_add_u32 s16, s16, 1
	s_addc_u32 s17, s17, 0
	s_waitcnt vmcnt(0)
	v_and_b32_e32 v25, 0xffff, v2
	v_lshlrev_b64 v[2:3], s4, v[25:26]
	s_add_u32 s4, s4, 8
	s_addc_u32 s5, s5, 0
	v_or_b32_e32 v16, v2, v16
	s_cmp_lg_u32 s19, s16
	v_or_b32_e32 v17, v3, v17
	s_cbranch_scc1 .LBB6_1954
	s_branch .LBB6_1957
.LBB6_1955:                             ;   in Loop: Header=BB6_1915 Depth=1
	s_mov_b64 s[16:17], -1
	s_branch .LBB6_1958
.LBB6_1956:                             ;   in Loop: Header=BB6_1915 Depth=1
	v_mov_b32_e32 v16, 0
	v_mov_b32_e32 v17, 0
.LBB6_1957:                             ;   in Loop: Header=BB6_1915 Depth=1
	s_mov_b64 s[16:17], 0
	s_mov_b64 s[4:5], s[14:15]
.LBB6_1958:                             ;   in Loop: Header=BB6_1915 Depth=1
	s_andn2_b64 vcc, exec, s[16:17]
	s_mov_b32 s18, 0
	s_cbranch_vccnz .LBB6_1960
; %bb.1959:                             ;   in Loop: Header=BB6_1915 Depth=1
	global_load_dwordx2 v[16:17], v26, s[14:15]
	s_add_i32 s18, s19, -8
.LBB6_1960:                             ;   in Loop: Header=BB6_1915 Depth=1
	s_add_u32 s14, s4, 8
	s_addc_u32 s15, s5, 0
	s_cmp_gt_u32 s18, 7
	s_cbranch_scc1 .LBB6_1964
; %bb.1961:                             ;   in Loop: Header=BB6_1915 Depth=1
	s_cmp_eq_u32 s18, 0
	s_cbranch_scc1 .LBB6_1965
; %bb.1962:                             ;   in Loop: Header=BB6_1915 Depth=1
	v_mov_b32_e32 v18, 0
	s_mov_b64 s[14:15], 0
	v_mov_b32_e32 v19, 0
	s_mov_b64 s[16:17], 0
.LBB6_1963:                             ;   Parent Loop BB6_1915 Depth=1
                                        ; =>  This Inner Loop Header: Depth=2
	s_add_u32 s20, s4, s16
	s_addc_u32 s21, s5, s17
	global_load_ubyte v2, v26, s[20:21]
	s_add_u32 s16, s16, 1
	s_addc_u32 s17, s17, 0
	s_waitcnt vmcnt(0)
	v_and_b32_e32 v25, 0xffff, v2
	v_lshlrev_b64 v[2:3], s14, v[25:26]
	s_add_u32 s14, s14, 8
	s_addc_u32 s15, s15, 0
	v_or_b32_e32 v18, v2, v18
	s_cmp_lg_u32 s18, s16
	v_or_b32_e32 v19, v3, v19
	s_cbranch_scc1 .LBB6_1963
	s_branch .LBB6_1966
.LBB6_1964:                             ;   in Loop: Header=BB6_1915 Depth=1
	s_mov_b64 s[16:17], -1
                                        ; implicit-def: $vgpr18_vgpr19
	s_branch .LBB6_1967
.LBB6_1965:                             ;   in Loop: Header=BB6_1915 Depth=1
	v_mov_b32_e32 v18, 0
	v_mov_b32_e32 v19, 0
.LBB6_1966:                             ;   in Loop: Header=BB6_1915 Depth=1
	s_mov_b64 s[16:17], 0
	s_mov_b64 s[14:15], s[4:5]
.LBB6_1967:                             ;   in Loop: Header=BB6_1915 Depth=1
	s_andn2_b64 vcc, exec, s[16:17]
	s_mov_b32 s19, 0
	s_cbranch_vccnz .LBB6_1969
; %bb.1968:                             ;   in Loop: Header=BB6_1915 Depth=1
	global_load_dwordx2 v[18:19], v26, s[4:5]
	s_add_i32 s19, s18, -8
.LBB6_1969:                             ;   in Loop: Header=BB6_1915 Depth=1
	s_cmp_gt_u32 s19, 7
	s_cbranch_scc1 .LBB6_1973
; %bb.1970:                             ;   in Loop: Header=BB6_1915 Depth=1
	s_cmp_eq_u32 s19, 0
	s_cbranch_scc1 .LBB6_1974
; %bb.1971:                             ;   in Loop: Header=BB6_1915 Depth=1
	v_mov_b32_e32 v20, 0
	s_mov_b64 s[4:5], 0
	v_mov_b32_e32 v21, 0
	s_mov_b64 s[16:17], s[14:15]
.LBB6_1972:                             ;   Parent Loop BB6_1915 Depth=1
                                        ; =>  This Inner Loop Header: Depth=2
	global_load_ubyte v2, v26, s[16:17]
	s_add_i32 s19, s19, -1
	s_waitcnt vmcnt(0)
	v_and_b32_e32 v25, 0xffff, v2
	v_lshlrev_b64 v[2:3], s4, v[25:26]
	s_add_u32 s4, s4, 8
	s_addc_u32 s5, s5, 0
	s_add_u32 s16, s16, 1
	s_addc_u32 s17, s17, 0
	v_or_b32_e32 v20, v2, v20
	s_cmp_lg_u32 s19, 0
	v_or_b32_e32 v21, v3, v21
	s_cbranch_scc1 .LBB6_1972
	s_branch .LBB6_1975
.LBB6_1973:                             ;   in Loop: Header=BB6_1915 Depth=1
	s_mov_b64 s[4:5], -1
	s_branch .LBB6_1976
.LBB6_1974:                             ;   in Loop: Header=BB6_1915 Depth=1
	v_mov_b32_e32 v20, 0
	v_mov_b32_e32 v21, 0
.LBB6_1975:                             ;   in Loop: Header=BB6_1915 Depth=1
	s_mov_b64 s[4:5], 0
.LBB6_1976:                             ;   in Loop: Header=BB6_1915 Depth=1
	s_andn2_b64 vcc, exec, s[4:5]
	s_cbranch_vccnz .LBB6_1978
; %bb.1977:                             ;   in Loop: Header=BB6_1915 Depth=1
	global_load_dwordx2 v[20:21], v26, s[14:15]
.LBB6_1978:                             ;   in Loop: Header=BB6_1915 Depth=1
	v_readfirstlane_b32 s4, v30
	v_mov_b32_e32 v2, 0
	v_mov_b32_e32 v3, 0
	v_cmp_eq_u32_e64 s[4:5], s4, v30
	s_and_saveexec_b64 s[14:15], s[4:5]
	s_cbranch_execz .LBB6_1984
; %bb.1979:                             ;   in Loop: Header=BB6_1915 Depth=1
	global_load_dwordx2 v[24:25], v26, s[6:7] offset:24 glc
	s_waitcnt vmcnt(0)
	buffer_wbinvl1_vol
	global_load_dwordx2 v[2:3], v26, s[6:7] offset:40
	global_load_dwordx2 v[22:23], v26, s[6:7]
	s_waitcnt vmcnt(1)
	v_and_b32_e32 v2, v2, v24
	v_and_b32_e32 v3, v3, v25
	v_mul_lo_u32 v3, v3, 24
	v_mul_hi_u32 v27, v2, 24
	v_mul_lo_u32 v2, v2, 24
	v_add_u32_e32 v3, v27, v3
	s_waitcnt vmcnt(0)
	v_add_co_u32_e32 v2, vcc, v22, v2
	v_addc_co_u32_e32 v3, vcc, v23, v3, vcc
	global_load_dwordx2 v[22:23], v[2:3], off glc
	s_waitcnt vmcnt(0)
	global_atomic_cmpswap_x2 v[2:3], v26, v[22:25], s[6:7] offset:24 glc
	s_waitcnt vmcnt(0)
	buffer_wbinvl1_vol
	v_cmp_ne_u64_e32 vcc, v[2:3], v[24:25]
	s_and_saveexec_b64 s[16:17], vcc
	s_cbranch_execz .LBB6_1983
; %bb.1980:                             ;   in Loop: Header=BB6_1915 Depth=1
	s_mov_b64 s[18:19], 0
.LBB6_1981:                             ;   Parent Loop BB6_1915 Depth=1
                                        ; =>  This Inner Loop Header: Depth=2
	s_sleep 1
	global_load_dwordx2 v[22:23], v26, s[6:7] offset:40
	global_load_dwordx2 v[27:28], v26, s[6:7]
	v_mov_b32_e32 v25, v3
	v_mov_b32_e32 v24, v2
	s_waitcnt vmcnt(1)
	v_and_b32_e32 v2, v22, v24
	s_waitcnt vmcnt(0)
	v_mad_u64_u32 v[2:3], s[20:21], v2, 24, v[27:28]
	v_and_b32_e32 v22, v23, v25
	v_mad_u64_u32 v[22:23], s[20:21], v22, 24, v[3:4]
	v_mov_b32_e32 v3, v22
	global_load_dwordx2 v[22:23], v[2:3], off glc
	s_waitcnt vmcnt(0)
	global_atomic_cmpswap_x2 v[2:3], v26, v[22:25], s[6:7] offset:24 glc
	s_waitcnt vmcnt(0)
	buffer_wbinvl1_vol
	v_cmp_eq_u64_e32 vcc, v[2:3], v[24:25]
	s_or_b64 s[18:19], vcc, s[18:19]
	s_andn2_b64 exec, exec, s[18:19]
	s_cbranch_execnz .LBB6_1981
; %bb.1982:                             ;   in Loop: Header=BB6_1915 Depth=1
	s_or_b64 exec, exec, s[18:19]
.LBB6_1983:                             ;   in Loop: Header=BB6_1915 Depth=1
	s_or_b64 exec, exec, s[16:17]
.LBB6_1984:                             ;   in Loop: Header=BB6_1915 Depth=1
	s_or_b64 exec, exec, s[14:15]
	global_load_dwordx2 v[27:28], v26, s[6:7] offset:40
	global_load_dwordx4 v[22:25], v26, s[6:7]
	v_readfirstlane_b32 s15, v3
	v_readfirstlane_b32 s14, v2
	s_mov_b64 s[16:17], exec
	s_waitcnt vmcnt(1)
	v_readfirstlane_b32 s18, v27
	v_readfirstlane_b32 s19, v28
	s_and_b64 s[18:19], s[18:19], s[14:15]
	s_mul_i32 s20, s19, 24
	s_mul_hi_u32 s21, s18, 24
	s_mul_i32 s22, s18, 24
	s_add_i32 s20, s21, s20
	v_mov_b32_e32 v2, s20
	s_waitcnt vmcnt(0)
	v_add_co_u32_e32 v27, vcc, s22, v22
	v_addc_co_u32_e32 v28, vcc, v23, v2, vcc
	s_and_saveexec_b64 s[20:21], s[4:5]
	s_cbranch_execz .LBB6_1986
; %bb.1985:                             ;   in Loop: Header=BB6_1915 Depth=1
	v_mov_b32_e32 v2, s16
	v_mov_b32_e32 v3, s17
	global_store_dwordx4 v[27:28], v[2:5], off offset:8
.LBB6_1986:                             ;   in Loop: Header=BB6_1915 Depth=1
	s_or_b64 exec, exec, s[20:21]
	s_lshl_b64 s[16:17], s[18:19], 12
	v_cmp_gt_u64_e64 s[18:19], s[10:11], 56
	v_mov_b32_e32 v2, s17
	v_add_co_u32_e32 v24, vcc, s16, v24
	s_and_b64 s[16:17], s[18:19], exec
	s_cselect_b32 s16, 0, 2
	s_lshl_b32 s17, s12, 2
	v_addc_co_u32_e32 v31, vcc, v25, v2, vcc
	s_add_i32 s17, s17, 28
	v_and_b32_e32 v2, 0xffffff1f, v6
	s_and_b32 s17, s17, 0x1e0
	v_or_b32_e32 v2, s16, v2
	v_or_b32_e32 v6, s17, v2
	v_readfirstlane_b32 s16, v24
	v_readfirstlane_b32 s17, v31
	s_nop 4
	global_store_dwordx4 v29, v[6:9], s[16:17]
	global_store_dwordx4 v29, v[10:13], s[16:17] offset:16
	global_store_dwordx4 v29, v[14:17], s[16:17] offset:32
	;; [unrolled: 1-line block ×3, first 2 shown]
	s_and_saveexec_b64 s[16:17], s[4:5]
	s_cbranch_execz .LBB6_1994
; %bb.1987:                             ;   in Loop: Header=BB6_1915 Depth=1
	global_load_dwordx2 v[10:11], v26, s[6:7] offset:32 glc
	global_load_dwordx2 v[2:3], v26, s[6:7] offset:40
	v_mov_b32_e32 v8, s14
	v_mov_b32_e32 v9, s15
	s_waitcnt vmcnt(0)
	v_readfirstlane_b32 s18, v2
	v_readfirstlane_b32 s19, v3
	s_and_b64 s[18:19], s[18:19], s[14:15]
	s_mul_i32 s19, s19, 24
	s_mul_hi_u32 s20, s18, 24
	s_mul_i32 s18, s18, 24
	s_add_i32 s19, s20, s19
	v_mov_b32_e32 v3, s19
	v_add_co_u32_e32 v2, vcc, s18, v22
	v_addc_co_u32_e32 v3, vcc, v23, v3, vcc
	global_store_dwordx2 v[2:3], v[10:11], off
	s_waitcnt vmcnt(0)
	global_atomic_cmpswap_x2 v[8:9], v26, v[8:11], s[6:7] offset:32 glc
	s_waitcnt vmcnt(0)
	v_cmp_ne_u64_e32 vcc, v[8:9], v[10:11]
	s_and_saveexec_b64 s[18:19], vcc
	s_cbranch_execz .LBB6_1990
; %bb.1988:                             ;   in Loop: Header=BB6_1915 Depth=1
	s_mov_b64 s[20:21], 0
.LBB6_1989:                             ;   Parent Loop BB6_1915 Depth=1
                                        ; =>  This Inner Loop Header: Depth=2
	s_sleep 1
	global_store_dwordx2 v[2:3], v[8:9], off
	v_mov_b32_e32 v6, s14
	v_mov_b32_e32 v7, s15
	s_waitcnt vmcnt(0)
	global_atomic_cmpswap_x2 v[6:7], v26, v[6:9], s[6:7] offset:32 glc
	s_waitcnt vmcnt(0)
	v_cmp_eq_u64_e32 vcc, v[6:7], v[8:9]
	v_mov_b32_e32 v9, v7
	s_or_b64 s[20:21], vcc, s[20:21]
	v_mov_b32_e32 v8, v6
	s_andn2_b64 exec, exec, s[20:21]
	s_cbranch_execnz .LBB6_1989
.LBB6_1990:                             ;   in Loop: Header=BB6_1915 Depth=1
	s_or_b64 exec, exec, s[18:19]
	global_load_dwordx2 v[2:3], v26, s[6:7] offset:16
	s_mov_b64 s[20:21], exec
	v_mbcnt_lo_u32_b32 v6, s20, 0
	v_mbcnt_hi_u32_b32 v6, s21, v6
	v_cmp_eq_u32_e32 vcc, 0, v6
	s_and_saveexec_b64 s[18:19], vcc
	s_cbranch_execz .LBB6_1992
; %bb.1991:                             ;   in Loop: Header=BB6_1915 Depth=1
	s_bcnt1_i32_b64 s20, s[20:21]
	v_mov_b32_e32 v25, s20
	s_waitcnt vmcnt(0)
	global_atomic_add_x2 v[2:3], v[25:26], off offset:8
.LBB6_1992:                             ;   in Loop: Header=BB6_1915 Depth=1
	s_or_b64 exec, exec, s[18:19]
	s_waitcnt vmcnt(0)
	global_load_dwordx2 v[6:7], v[2:3], off offset:16
	s_waitcnt vmcnt(0)
	v_cmp_eq_u64_e32 vcc, 0, v[6:7]
	s_cbranch_vccnz .LBB6_1994
; %bb.1993:                             ;   in Loop: Header=BB6_1915 Depth=1
	global_load_dword v25, v[2:3], off offset:24
	s_waitcnt vmcnt(0)
	v_readfirstlane_b32 s18, v25
	s_and_b32 m0, s18, 0xffffff
	global_store_dwordx2 v[6:7], v[25:26], off
	s_sendmsg sendmsg(MSG_INTERRUPT)
.LBB6_1994:                             ;   in Loop: Header=BB6_1915 Depth=1
	s_or_b64 exec, exec, s[16:17]
	v_add_co_u32_e32 v2, vcc, v24, v29
	v_addc_co_u32_e32 v3, vcc, 0, v31, vcc
	s_branch .LBB6_1998
.LBB6_1995:                             ;   in Loop: Header=BB6_1998 Depth=2
	s_or_b64 exec, exec, s[16:17]
	v_readfirstlane_b32 s16, v6
	s_cmp_eq_u32 s16, 0
	s_cbranch_scc1 .LBB6_1997
; %bb.1996:                             ;   in Loop: Header=BB6_1998 Depth=2
	s_sleep 1
	s_cbranch_execnz .LBB6_1998
	s_branch .LBB6_2000
.LBB6_1997:                             ;   in Loop: Header=BB6_1915 Depth=1
	s_branch .LBB6_2000
.LBB6_1998:                             ;   Parent Loop BB6_1915 Depth=1
                                        ; =>  This Inner Loop Header: Depth=2
	v_mov_b32_e32 v6, 1
	s_and_saveexec_b64 s[16:17], s[4:5]
	s_cbranch_execz .LBB6_1995
; %bb.1999:                             ;   in Loop: Header=BB6_1998 Depth=2
	global_load_dword v6, v[27:28], off offset:20 glc
	s_waitcnt vmcnt(0)
	buffer_wbinvl1_vol
	v_and_b32_e32 v6, 1, v6
	s_branch .LBB6_1995
.LBB6_2000:                             ;   in Loop: Header=BB6_1915 Depth=1
	global_load_dwordx4 v[6:9], v[2:3], off
	s_and_saveexec_b64 s[16:17], s[4:5]
	s_cbranch_execz .LBB6_1914
; %bb.2001:                             ;   in Loop: Header=BB6_1915 Depth=1
	global_load_dwordx2 v[2:3], v26, s[6:7] offset:40
	global_load_dwordx2 v[12:13], v26, s[6:7] offset:24 glc
	global_load_dwordx2 v[8:9], v26, s[6:7]
	s_waitcnt vmcnt(2)
	v_readfirstlane_b32 s18, v2
	v_readfirstlane_b32 s19, v3
	s_add_u32 s20, s18, 1
	s_addc_u32 s21, s19, 0
	s_add_u32 s4, s20, s14
	s_addc_u32 s5, s21, s15
	s_cmp_eq_u64 s[4:5], 0
	s_cselect_b32 s5, s21, s5
	s_cselect_b32 s4, s20, s4
	s_and_b64 s[14:15], s[4:5], s[18:19]
	s_mul_i32 s15, s15, 24
	s_mul_hi_u32 s18, s14, 24
	s_mul_i32 s14, s14, 24
	s_add_i32 s15, s18, s15
	v_mov_b32_e32 v3, s15
	s_waitcnt vmcnt(0)
	v_add_co_u32_e32 v2, vcc, s14, v8
	v_addc_co_u32_e32 v3, vcc, v9, v3, vcc
	v_mov_b32_e32 v10, s4
	global_store_dwordx2 v[2:3], v[12:13], off
	v_mov_b32_e32 v11, s5
	s_waitcnt vmcnt(0)
	global_atomic_cmpswap_x2 v[10:11], v26, v[10:13], s[6:7] offset:24 glc
	s_waitcnt vmcnt(0)
	v_cmp_ne_u64_e32 vcc, v[10:11], v[12:13]
	s_and_b64 exec, exec, vcc
	s_cbranch_execz .LBB6_1914
; %bb.2002:                             ;   in Loop: Header=BB6_1915 Depth=1
	s_mov_b64 s[14:15], 0
.LBB6_2003:                             ;   Parent Loop BB6_1915 Depth=1
                                        ; =>  This Inner Loop Header: Depth=2
	s_sleep 1
	global_store_dwordx2 v[2:3], v[10:11], off
	v_mov_b32_e32 v8, s4
	v_mov_b32_e32 v9, s5
	s_waitcnt vmcnt(0)
	global_atomic_cmpswap_x2 v[8:9], v26, v[8:11], s[6:7] offset:24 glc
	s_waitcnt vmcnt(0)
	v_cmp_eq_u64_e32 vcc, v[8:9], v[10:11]
	v_mov_b32_e32 v11, v9
	s_or_b64 s[14:15], vcc, s[14:15]
	v_mov_b32_e32 v10, v8
	s_andn2_b64 exec, exec, s[14:15]
	s_cbranch_execnz .LBB6_2003
	s_branch .LBB6_1914
.LBB6_2004:
	s_mov_b64 s[4:5], 0
	s_branch .LBB6_2006
.LBB6_2005:
	s_mov_b64 s[4:5], -1
.LBB6_2006:
	s_and_b64 vcc, exec, s[4:5]
	s_cbranch_vccz .LBB6_2033
; %bb.2007:
	v_readfirstlane_b32 s4, v30
	s_waitcnt vmcnt(0)
	v_mov_b32_e32 v8, 0
	v_mov_b32_e32 v9, 0
	v_cmp_eq_u32_e64 s[4:5], s4, v30
	s_and_saveexec_b64 s[8:9], s[4:5]
	s_cbranch_execz .LBB6_2013
; %bb.2008:
	v_mov_b32_e32 v2, 0
	global_load_dwordx2 v[5:6], v2, s[6:7] offset:24 glc
	s_waitcnt vmcnt(0)
	buffer_wbinvl1_vol
	global_load_dwordx2 v[3:4], v2, s[6:7] offset:40
	global_load_dwordx2 v[7:8], v2, s[6:7]
	s_waitcnt vmcnt(1)
	v_and_b32_e32 v3, v3, v5
	v_and_b32_e32 v4, v4, v6
	v_mul_lo_u32 v4, v4, 24
	v_mul_hi_u32 v9, v3, 24
	v_mul_lo_u32 v3, v3, 24
	v_add_u32_e32 v4, v9, v4
	s_waitcnt vmcnt(0)
	v_add_co_u32_e32 v3, vcc, v7, v3
	v_addc_co_u32_e32 v4, vcc, v8, v4, vcc
	global_load_dwordx2 v[3:4], v[3:4], off glc
	s_waitcnt vmcnt(0)
	global_atomic_cmpswap_x2 v[8:9], v2, v[3:6], s[6:7] offset:24 glc
	s_waitcnt vmcnt(0)
	buffer_wbinvl1_vol
	v_cmp_ne_u64_e32 vcc, v[8:9], v[5:6]
	s_and_saveexec_b64 s[10:11], vcc
	s_cbranch_execz .LBB6_2012
; %bb.2009:
	s_mov_b64 s[12:13], 0
.LBB6_2010:                             ; =>This Inner Loop Header: Depth=1
	s_sleep 1
	global_load_dwordx2 v[3:4], v2, s[6:7] offset:40
	global_load_dwordx2 v[10:11], v2, s[6:7]
	v_mov_b32_e32 v5, v8
	v_mov_b32_e32 v6, v9
	s_waitcnt vmcnt(1)
	v_and_b32_e32 v3, v3, v5
	s_waitcnt vmcnt(0)
	v_mad_u64_u32 v[7:8], s[14:15], v3, 24, v[10:11]
	v_and_b32_e32 v4, v4, v6
	v_mov_b32_e32 v3, v8
	v_mad_u64_u32 v[3:4], s[14:15], v4, 24, v[3:4]
	v_mov_b32_e32 v8, v3
	global_load_dwordx2 v[3:4], v[7:8], off glc
	s_waitcnt vmcnt(0)
	global_atomic_cmpswap_x2 v[8:9], v2, v[3:6], s[6:7] offset:24 glc
	s_waitcnt vmcnt(0)
	buffer_wbinvl1_vol
	v_cmp_eq_u64_e32 vcc, v[8:9], v[5:6]
	s_or_b64 s[12:13], vcc, s[12:13]
	s_andn2_b64 exec, exec, s[12:13]
	s_cbranch_execnz .LBB6_2010
; %bb.2011:
	s_or_b64 exec, exec, s[12:13]
.LBB6_2012:
	s_or_b64 exec, exec, s[10:11]
.LBB6_2013:
	s_or_b64 exec, exec, s[8:9]
	v_mov_b32_e32 v2, 0
	global_load_dwordx2 v[10:11], v2, s[6:7] offset:40
	global_load_dwordx4 v[4:7], v2, s[6:7]
	v_readfirstlane_b32 s9, v9
	v_readfirstlane_b32 s8, v8
	s_mov_b64 s[10:11], exec
	s_waitcnt vmcnt(1)
	v_readfirstlane_b32 s12, v10
	v_readfirstlane_b32 s13, v11
	s_and_b64 s[12:13], s[12:13], s[8:9]
	s_mul_i32 s14, s13, 24
	s_mul_hi_u32 s15, s12, 24
	s_mul_i32 s16, s12, 24
	s_add_i32 s14, s15, s14
	v_mov_b32_e32 v3, s14
	s_waitcnt vmcnt(0)
	v_add_co_u32_e32 v8, vcc, s16, v4
	v_addc_co_u32_e32 v9, vcc, v5, v3, vcc
	s_and_saveexec_b64 s[14:15], s[4:5]
	s_cbranch_execz .LBB6_2015
; %bb.2014:
	v_mov_b32_e32 v10, s10
	v_mov_b32_e32 v11, s11
	;; [unrolled: 1-line block ×4, first 2 shown]
	global_store_dwordx4 v[8:9], v[10:13], off offset:8
.LBB6_2015:
	s_or_b64 exec, exec, s[14:15]
	s_lshl_b64 s[10:11], s[12:13], 12
	v_mov_b32_e32 v3, s11
	v_add_co_u32_e32 v6, vcc, s10, v6
	v_addc_co_u32_e32 v7, vcc, v7, v3, vcc
	s_movk_i32 s10, 0xff1d
	v_and_or_b32 v0, v0, s10, 34
	s_mov_b32 s12, 0
	v_mov_b32_e32 v3, v2
	v_readfirstlane_b32 s10, v6
	v_readfirstlane_b32 s11, v7
	s_mov_b32 s13, s12
	s_mov_b32 s14, s12
	;; [unrolled: 1-line block ×3, first 2 shown]
	s_nop 1
	global_store_dwordx4 v29, v[0:3], s[10:11]
	s_nop 0
	v_mov_b32_e32 v0, s12
	v_mov_b32_e32 v1, s13
	;; [unrolled: 1-line block ×4, first 2 shown]
	global_store_dwordx4 v29, v[0:3], s[10:11] offset:16
	global_store_dwordx4 v29, v[0:3], s[10:11] offset:32
	global_store_dwordx4 v29, v[0:3], s[10:11] offset:48
	s_and_saveexec_b64 s[10:11], s[4:5]
	s_cbranch_execz .LBB6_2023
; %bb.2016:
	v_mov_b32_e32 v6, 0
	global_load_dwordx2 v[12:13], v6, s[6:7] offset:32 glc
	global_load_dwordx2 v[0:1], v6, s[6:7] offset:40
	v_mov_b32_e32 v10, s8
	v_mov_b32_e32 v11, s9
	s_waitcnt vmcnt(0)
	v_readfirstlane_b32 s12, v0
	v_readfirstlane_b32 s13, v1
	s_and_b64 s[12:13], s[12:13], s[8:9]
	s_mul_i32 s13, s13, 24
	s_mul_hi_u32 s14, s12, 24
	s_mul_i32 s12, s12, 24
	s_add_i32 s13, s14, s13
	v_mov_b32_e32 v0, s13
	v_add_co_u32_e32 v4, vcc, s12, v4
	v_addc_co_u32_e32 v5, vcc, v5, v0, vcc
	global_store_dwordx2 v[4:5], v[12:13], off
	s_waitcnt vmcnt(0)
	global_atomic_cmpswap_x2 v[2:3], v6, v[10:13], s[6:7] offset:32 glc
	s_waitcnt vmcnt(0)
	v_cmp_ne_u64_e32 vcc, v[2:3], v[12:13]
	s_and_saveexec_b64 s[12:13], vcc
	s_cbranch_execz .LBB6_2019
; %bb.2017:
	s_mov_b64 s[14:15], 0
.LBB6_2018:                             ; =>This Inner Loop Header: Depth=1
	s_sleep 1
	global_store_dwordx2 v[4:5], v[2:3], off
	v_mov_b32_e32 v0, s8
	v_mov_b32_e32 v1, s9
	s_waitcnt vmcnt(0)
	global_atomic_cmpswap_x2 v[0:1], v6, v[0:3], s[6:7] offset:32 glc
	s_waitcnt vmcnt(0)
	v_cmp_eq_u64_e32 vcc, v[0:1], v[2:3]
	v_mov_b32_e32 v3, v1
	s_or_b64 s[14:15], vcc, s[14:15]
	v_mov_b32_e32 v2, v0
	s_andn2_b64 exec, exec, s[14:15]
	s_cbranch_execnz .LBB6_2018
.LBB6_2019:
	s_or_b64 exec, exec, s[12:13]
	v_mov_b32_e32 v3, 0
	global_load_dwordx2 v[0:1], v3, s[6:7] offset:16
	s_mov_b64 s[12:13], exec
	v_mbcnt_lo_u32_b32 v2, s12, 0
	v_mbcnt_hi_u32_b32 v2, s13, v2
	v_cmp_eq_u32_e32 vcc, 0, v2
	s_and_saveexec_b64 s[14:15], vcc
	s_cbranch_execz .LBB6_2021
; %bb.2020:
	s_bcnt1_i32_b64 s12, s[12:13]
	v_mov_b32_e32 v2, s12
	s_waitcnt vmcnt(0)
	global_atomic_add_x2 v[0:1], v[2:3], off offset:8
.LBB6_2021:
	s_or_b64 exec, exec, s[14:15]
	s_waitcnt vmcnt(0)
	global_load_dwordx2 v[2:3], v[0:1], off offset:16
	s_waitcnt vmcnt(0)
	v_cmp_eq_u64_e32 vcc, 0, v[2:3]
	s_cbranch_vccnz .LBB6_2023
; %bb.2022:
	global_load_dword v0, v[0:1], off offset:24
	v_mov_b32_e32 v1, 0
	s_waitcnt vmcnt(0)
	v_readfirstlane_b32 s12, v0
	s_and_b32 m0, s12, 0xffffff
	global_store_dwordx2 v[2:3], v[0:1], off
	s_sendmsg sendmsg(MSG_INTERRUPT)
.LBB6_2023:
	s_or_b64 exec, exec, s[10:11]
	s_branch .LBB6_2027
.LBB6_2024:                             ;   in Loop: Header=BB6_2027 Depth=1
	s_or_b64 exec, exec, s[10:11]
	v_readfirstlane_b32 s10, v0
	s_cmp_eq_u32 s10, 0
	s_cbranch_scc1 .LBB6_2026
; %bb.2025:                             ;   in Loop: Header=BB6_2027 Depth=1
	s_sleep 1
	s_cbranch_execnz .LBB6_2027
	s_branch .LBB6_2029
.LBB6_2026:
	s_branch .LBB6_2029
.LBB6_2027:                             ; =>This Inner Loop Header: Depth=1
	v_mov_b32_e32 v0, 1
	s_and_saveexec_b64 s[10:11], s[4:5]
	s_cbranch_execz .LBB6_2024
; %bb.2028:                             ;   in Loop: Header=BB6_2027 Depth=1
	global_load_dword v0, v[8:9], off offset:20 glc
	s_waitcnt vmcnt(0)
	buffer_wbinvl1_vol
	v_and_b32_e32 v0, 1, v0
	s_branch .LBB6_2024
.LBB6_2029:
	s_and_saveexec_b64 s[10:11], s[4:5]
	s_cbranch_execz .LBB6_2032
; %bb.2030:
	v_mov_b32_e32 v6, 0
	global_load_dwordx2 v[0:1], v6, s[6:7] offset:40
	global_load_dwordx2 v[9:10], v6, s[6:7] offset:24 glc
	global_load_dwordx2 v[2:3], v6, s[6:7]
	s_waitcnt vmcnt(2)
	v_readfirstlane_b32 s12, v0
	v_readfirstlane_b32 s13, v1
	s_add_u32 s14, s12, 1
	s_addc_u32 s15, s13, 0
	s_add_u32 s4, s14, s8
	s_addc_u32 s5, s15, s9
	s_cmp_eq_u64 s[4:5], 0
	s_cselect_b32 s5, s15, s5
	s_cselect_b32 s4, s14, s4
	s_and_b64 s[8:9], s[4:5], s[12:13]
	s_mul_i32 s9, s9, 24
	s_mul_hi_u32 s12, s8, 24
	s_mul_i32 s8, s8, 24
	s_add_i32 s9, s12, s9
	v_mov_b32_e32 v0, s9
	s_waitcnt vmcnt(0)
	v_add_co_u32_e32 v4, vcc, s8, v2
	v_addc_co_u32_e32 v5, vcc, v3, v0, vcc
	v_mov_b32_e32 v7, s4
	global_store_dwordx2 v[4:5], v[9:10], off
	v_mov_b32_e32 v8, s5
	s_waitcnt vmcnt(0)
	global_atomic_cmpswap_x2 v[2:3], v6, v[7:10], s[6:7] offset:24 glc
	s_mov_b64 s[8:9], 0
	s_waitcnt vmcnt(0)
	v_cmp_ne_u64_e32 vcc, v[2:3], v[9:10]
	s_and_b64 exec, exec, vcc
	s_cbranch_execz .LBB6_2032
.LBB6_2031:                             ; =>This Inner Loop Header: Depth=1
	s_sleep 1
	global_store_dwordx2 v[4:5], v[2:3], off
	v_mov_b32_e32 v0, s4
	v_mov_b32_e32 v1, s5
	s_waitcnt vmcnt(0)
	global_atomic_cmpswap_x2 v[0:1], v6, v[0:3], s[6:7] offset:24 glc
	s_waitcnt vmcnt(0)
	v_cmp_eq_u64_e32 vcc, v[0:1], v[2:3]
	v_mov_b32_e32 v3, v1
	s_or_b64 s[8:9], vcc, s[8:9]
	v_mov_b32_e32 v2, v0
	s_andn2_b64 exec, exec, s[8:9]
	s_cbranch_execnz .LBB6_2031
.LBB6_2032:
	s_or_b64 exec, exec, s[10:11]
.LBB6_2033:
	s_getpc_b64 s[4:5]
	s_add_u32 s4, s4, .str.29@rel32@lo+4
	s_addc_u32 s5, s5, .str.29@rel32@hi+12
	s_getpc_b64 s[6:7]
	s_add_u32 s6, s6, .str.19@rel32@lo+4
	s_addc_u32 s7, s7, .str.19@rel32@hi+12
	s_getpc_b64 s[10:11]
	s_add_u32 s10, s10, __PRETTY_FUNCTION__._ZN7VecsMemIjLi8192EE5fetchEi@rel32@lo+4
	s_addc_u32 s11, s11, __PRETTY_FUNCTION__._ZN7VecsMemIjLi8192EE5fetchEi@rel32@hi+12
	s_getpc_b64 s[12:13]
	s_add_u32 s12, s12, __assert_fail@rel32@lo+4
	s_addc_u32 s13, s13, __assert_fail@rel32@hi+12
	s_mov_b64 s[8:9], s[64:65]
	s_waitcnt vmcnt(0)
	v_mov_b32_e32 v0, s4
	v_mov_b32_e32 v1, s5
	;; [unrolled: 1-line block ×7, first 2 shown]
	s_swappc_b64 s[30:31], s[12:13]
	v_mov_b32_e32 v15, v56
	s_or_b64 s[4:5], s[56:57], exec
	v_mov_b32_e32 v4, v41
	v_mov_b32_e32 v16, v57
.LBB6_2034:
	s_or_b64 exec, exec, s[88:89]
	s_andn2_b64 s[6:7], s[56:57], exec
	s_and_b64 s[4:5], s[4:5], exec
	s_or_b64 s[84:85], s[6:7], s[4:5]
	s_orn2_b64 s[6:7], s[76:77], exec
.LBB6_2035:
	s_or_b64 exec, exec, s[74:75]
	s_mov_b64 s[4:5], 0
	s_mov_b64 s[8:9], s[58:59]
                                        ; implicit-def: $vgpr41
	s_and_saveexec_b64 s[50:51], s[6:7]
	s_cbranch_execz .LBB6_2414
; %bb.2036:
	v_mov_b32_e32 v56, 0
	v_mov_b32_e32 v0, 0
	s_mov_b64 s[8:9], -1
	v_mov_b32_e32 v57, 0
	s_mov_b64 s[14:15], s[84:85]
	buffer_store_dword v61, off, s[0:3], s33 offset:100
	buffer_store_dword v60, off, s[0:3], s33 offset:96
	buffer_store_dword v0, off, s[0:3], s33 offset:108
	s_and_saveexec_b64 s[74:75], s[26:27]
	s_cbranch_execz .LBB6_2188
; %bb.2037:
	flat_load_dword v0, v[44:45]
	s_movk_i32 s4, 0x2001
	v_mov_b32_e32 v56, 0
	v_mov_b32_e32 v57, 0
	s_mov_b64 s[26:27], 0
	s_waitcnt vmcnt(0) lgkmcnt(0)
	v_add_u32_e32 v0, v0, v55
	v_cmp_gt_i32_e32 vcc, s4, v0
	s_and_saveexec_b64 s[4:5], vcc
	s_xor_b64 s[4:5], exec, s[4:5]
	s_cbranch_execz .LBB6_2039
; %bb.2038:
	v_ashrrev_i32_e32 v1, 31, v0
	flat_store_dword v[44:45], v0
	v_lshlrev_b64 v[0:1], 2, v[0:1]
	v_mov_b32_e32 v56, 0
	v_add_co_u32_e32 v2, vcc, v44, v0
	v_addc_co_u32_e32 v3, vcc, v45, v1, vcc
	v_lshlrev_b64 v[0:1], 2, v[55:56]
	s_mov_b64 s[26:27], exec
	v_sub_co_u32_e32 v0, vcc, v2, v0
	v_subb_co_u32_e32 v1, vcc, v3, v1, vcc
	v_add_co_u32_e32 v56, vcc, 4, v0
	v_addc_co_u32_e32 v57, vcc, 0, v1, vcc
.LBB6_2039:
	s_or_saveexec_b64 s[76:77], s[4:5]
	s_mov_b64 s[4:5], s[84:85]
	s_xor_b64 exec, exec, s[76:77]
	s_cbranch_execz .LBB6_2187
; %bb.2040:
	s_load_dwordx2 s[6:7], s[64:65], 0x50
	v_mbcnt_lo_u32_b32 v0, -1, 0
	v_mbcnt_hi_u32_b32 v30, -1, v0
	v_readfirstlane_b32 s4, v30
	v_mov_b32_e32 v5, 0
	v_mov_b32_e32 v41, v4
	v_mov_b32_e32 v6, 0
	v_cmp_eq_u32_e64 s[4:5], s4, v30
	s_and_saveexec_b64 s[8:9], s[4:5]
	s_cbranch_execz .LBB6_2046
; %bb.2041:
	v_mov_b32_e32 v0, 0
	s_waitcnt lgkmcnt(0)
	global_load_dwordx2 v[3:4], v0, s[6:7] offset:24 glc
	s_waitcnt vmcnt(0)
	buffer_wbinvl1_vol
	global_load_dwordx2 v[1:2], v0, s[6:7] offset:40
	global_load_dwordx2 v[5:6], v0, s[6:7]
	s_waitcnt vmcnt(1)
	v_and_b32_e32 v1, v1, v3
	v_and_b32_e32 v2, v2, v4
	v_mul_lo_u32 v2, v2, 24
	v_mul_hi_u32 v7, v1, 24
	v_mul_lo_u32 v1, v1, 24
	v_add_u32_e32 v2, v7, v2
	s_waitcnt vmcnt(0)
	v_add_co_u32_e32 v1, vcc, v5, v1
	v_addc_co_u32_e32 v2, vcc, v6, v2, vcc
	global_load_dwordx2 v[1:2], v[1:2], off glc
	s_waitcnt vmcnt(0)
	global_atomic_cmpswap_x2 v[5:6], v0, v[1:4], s[6:7] offset:24 glc
	s_waitcnt vmcnt(0)
	buffer_wbinvl1_vol
	v_cmp_ne_u64_e32 vcc, v[5:6], v[3:4]
	s_and_saveexec_b64 s[10:11], vcc
	s_cbranch_execz .LBB6_2045
; %bb.2042:
	s_mov_b64 s[12:13], 0
.LBB6_2043:                             ; =>This Inner Loop Header: Depth=1
	s_sleep 1
	global_load_dwordx2 v[1:2], v0, s[6:7] offset:40
	global_load_dwordx2 v[7:8], v0, s[6:7]
	v_mov_b32_e32 v3, v5
	v_mov_b32_e32 v4, v6
	s_waitcnt vmcnt(1)
	v_and_b32_e32 v1, v1, v3
	s_waitcnt vmcnt(0)
	v_mad_u64_u32 v[5:6], s[14:15], v1, 24, v[7:8]
	v_and_b32_e32 v2, v2, v4
	v_mov_b32_e32 v1, v6
	v_mad_u64_u32 v[1:2], s[14:15], v2, 24, v[1:2]
	v_mov_b32_e32 v6, v1
	global_load_dwordx2 v[1:2], v[5:6], off glc
	s_waitcnt vmcnt(0)
	global_atomic_cmpswap_x2 v[5:6], v0, v[1:4], s[6:7] offset:24 glc
	s_waitcnt vmcnt(0)
	buffer_wbinvl1_vol
	v_cmp_eq_u64_e32 vcc, v[5:6], v[3:4]
	s_or_b64 s[12:13], vcc, s[12:13]
	s_andn2_b64 exec, exec, s[12:13]
	s_cbranch_execnz .LBB6_2043
; %bb.2044:
	s_or_b64 exec, exec, s[12:13]
.LBB6_2045:
	s_or_b64 exec, exec, s[10:11]
.LBB6_2046:
	s_or_b64 exec, exec, s[8:9]
	v_mov_b32_e32 v4, 0
	s_waitcnt lgkmcnt(0)
	global_load_dwordx2 v[7:8], v4, s[6:7] offset:40
	global_load_dwordx4 v[0:3], v4, s[6:7]
	v_readfirstlane_b32 s9, v6
	v_readfirstlane_b32 s8, v5
	s_mov_b64 s[10:11], exec
	s_waitcnt vmcnt(0)
	v_readfirstlane_b32 s12, v7
	v_readfirstlane_b32 s13, v8
	s_and_b64 s[12:13], s[12:13], s[8:9]
	s_mul_i32 s14, s13, 24
	s_mul_hi_u32 s15, s12, 24
	s_mul_i32 s16, s12, 24
	s_add_i32 s14, s15, s14
	v_mov_b32_e32 v5, s14
	v_add_co_u32_e32 v7, vcc, s16, v0
	v_addc_co_u32_e32 v8, vcc, v1, v5, vcc
	s_and_saveexec_b64 s[14:15], s[4:5]
	s_cbranch_execz .LBB6_2048
; %bb.2047:
	v_mov_b32_e32 v9, s10
	v_mov_b32_e32 v10, s11
	;; [unrolled: 1-line block ×4, first 2 shown]
	global_store_dwordx4 v[7:8], v[9:12], off offset:8
.LBB6_2048:
	s_or_b64 exec, exec, s[14:15]
	s_lshl_b64 s[10:11], s[12:13], 12
	v_mov_b32_e32 v5, s11
	v_add_co_u32_e32 v2, vcc, s10, v2
	v_addc_co_u32_e32 v11, vcc, v3, v5, vcc
	v_lshlrev_b32_e32 v29, 6, v30
	s_mov_b32 s12, 0
	v_mov_b32_e32 v3, 33
	v_mov_b32_e32 v5, v4
	;; [unrolled: 1-line block ×3, first 2 shown]
	v_readfirstlane_b32 s10, v2
	v_readfirstlane_b32 s11, v11
	v_add_co_u32_e32 v9, vcc, v2, v29
	s_mov_b32 s13, s12
	s_mov_b32 s14, s12
	;; [unrolled: 1-line block ×3, first 2 shown]
	s_nop 0
	global_store_dwordx4 v29, v[3:6], s[10:11]
	v_mov_b32_e32 v2, s12
	v_addc_co_u32_e32 v10, vcc, 0, v11, vcc
	v_mov_b32_e32 v3, s13
	v_mov_b32_e32 v4, s14
	;; [unrolled: 1-line block ×3, first 2 shown]
	global_store_dwordx4 v29, v[2:5], s[10:11] offset:16
	global_store_dwordx4 v29, v[2:5], s[10:11] offset:32
	;; [unrolled: 1-line block ×3, first 2 shown]
	s_and_saveexec_b64 s[10:11], s[4:5]
	s_cbranch_execz .LBB6_2056
; %bb.2049:
	v_mov_b32_e32 v6, 0
	global_load_dwordx2 v[13:14], v6, s[6:7] offset:32 glc
	global_load_dwordx2 v[2:3], v6, s[6:7] offset:40
	v_mov_b32_e32 v11, s8
	v_mov_b32_e32 v12, s9
	s_waitcnt vmcnt(0)
	v_and_b32_e32 v2, s8, v2
	v_and_b32_e32 v3, s9, v3
	v_mul_lo_u32 v3, v3, 24
	v_mul_hi_u32 v4, v2, 24
	v_mul_lo_u32 v2, v2, 24
	v_add_u32_e32 v3, v4, v3
	v_add_co_u32_e32 v4, vcc, v0, v2
	v_addc_co_u32_e32 v5, vcc, v1, v3, vcc
	global_store_dwordx2 v[4:5], v[13:14], off
	s_waitcnt vmcnt(0)
	global_atomic_cmpswap_x2 v[2:3], v6, v[11:14], s[6:7] offset:32 glc
	s_waitcnt vmcnt(0)
	v_cmp_ne_u64_e32 vcc, v[2:3], v[13:14]
	s_and_saveexec_b64 s[12:13], vcc
	s_cbranch_execz .LBB6_2052
; %bb.2050:
	s_mov_b64 s[14:15], 0
.LBB6_2051:                             ; =>This Inner Loop Header: Depth=1
	s_sleep 1
	global_store_dwordx2 v[4:5], v[2:3], off
	v_mov_b32_e32 v0, s8
	v_mov_b32_e32 v1, s9
	s_waitcnt vmcnt(0)
	global_atomic_cmpswap_x2 v[0:1], v6, v[0:3], s[6:7] offset:32 glc
	s_waitcnt vmcnt(0)
	v_cmp_eq_u64_e32 vcc, v[0:1], v[2:3]
	v_mov_b32_e32 v3, v1
	s_or_b64 s[14:15], vcc, s[14:15]
	v_mov_b32_e32 v2, v0
	s_andn2_b64 exec, exec, s[14:15]
	s_cbranch_execnz .LBB6_2051
.LBB6_2052:
	s_or_b64 exec, exec, s[12:13]
	v_mov_b32_e32 v3, 0
	global_load_dwordx2 v[0:1], v3, s[6:7] offset:16
	s_mov_b64 s[12:13], exec
	v_mbcnt_lo_u32_b32 v2, s12, 0
	v_mbcnt_hi_u32_b32 v2, s13, v2
	v_cmp_eq_u32_e32 vcc, 0, v2
	s_and_saveexec_b64 s[14:15], vcc
	s_cbranch_execz .LBB6_2054
; %bb.2053:
	s_bcnt1_i32_b64 s12, s[12:13]
	v_mov_b32_e32 v2, s12
	s_waitcnt vmcnt(0)
	global_atomic_add_x2 v[0:1], v[2:3], off offset:8
.LBB6_2054:
	s_or_b64 exec, exec, s[14:15]
	s_waitcnt vmcnt(0)
	global_load_dwordx2 v[2:3], v[0:1], off offset:16
	s_waitcnt vmcnt(0)
	v_cmp_eq_u64_e32 vcc, 0, v[2:3]
	s_cbranch_vccnz .LBB6_2056
; %bb.2055:
	global_load_dword v0, v[0:1], off offset:24
	v_mov_b32_e32 v1, 0
	s_waitcnt vmcnt(0)
	v_readfirstlane_b32 s12, v0
	s_and_b32 m0, s12, 0xffffff
	global_store_dwordx2 v[2:3], v[0:1], off
	s_sendmsg sendmsg(MSG_INTERRUPT)
.LBB6_2056:
	s_or_b64 exec, exec, s[10:11]
	s_branch .LBB6_2060
.LBB6_2057:                             ;   in Loop: Header=BB6_2060 Depth=1
	s_or_b64 exec, exec, s[10:11]
	v_readfirstlane_b32 s10, v0
	s_cmp_eq_u32 s10, 0
	s_cbranch_scc1 .LBB6_2059
; %bb.2058:                             ;   in Loop: Header=BB6_2060 Depth=1
	s_sleep 1
	s_cbranch_execnz .LBB6_2060
	s_branch .LBB6_2062
.LBB6_2059:
	s_branch .LBB6_2062
.LBB6_2060:                             ; =>This Inner Loop Header: Depth=1
	v_mov_b32_e32 v0, 1
	s_and_saveexec_b64 s[10:11], s[4:5]
	s_cbranch_execz .LBB6_2057
; %bb.2061:                             ;   in Loop: Header=BB6_2060 Depth=1
	global_load_dword v0, v[7:8], off offset:20 glc
	s_waitcnt vmcnt(0)
	buffer_wbinvl1_vol
	v_and_b32_e32 v0, 1, v0
	s_branch .LBB6_2057
.LBB6_2062:
	global_load_dwordx2 v[0:1], v[9:10], off
	s_and_saveexec_b64 s[10:11], s[4:5]
	s_cbranch_execz .LBB6_2065
; %bb.2063:
	v_mov_b32_e32 v8, 0
	global_load_dwordx2 v[2:3], v8, s[6:7] offset:40
	global_load_dwordx2 v[11:12], v8, s[6:7] offset:24 glc
	global_load_dwordx2 v[4:5], v8, s[6:7]
	s_waitcnt vmcnt(2)
	v_readfirstlane_b32 s12, v2
	v_readfirstlane_b32 s13, v3
	s_add_u32 s14, s12, 1
	s_addc_u32 s15, s13, 0
	s_add_u32 s4, s14, s8
	s_addc_u32 s5, s15, s9
	s_cmp_eq_u64 s[4:5], 0
	s_cselect_b32 s5, s15, s5
	s_cselect_b32 s4, s14, s4
	s_and_b64 s[8:9], s[4:5], s[12:13]
	s_mul_i32 s9, s9, 24
	s_mul_hi_u32 s12, s8, 24
	s_mul_i32 s8, s8, 24
	s_add_i32 s9, s12, s9
	v_mov_b32_e32 v2, s9
	s_waitcnt vmcnt(0)
	v_add_co_u32_e32 v6, vcc, s8, v4
	v_addc_co_u32_e32 v7, vcc, v5, v2, vcc
	v_mov_b32_e32 v9, s4
	global_store_dwordx2 v[6:7], v[11:12], off
	v_mov_b32_e32 v10, s5
	s_waitcnt vmcnt(0)
	global_atomic_cmpswap_x2 v[4:5], v8, v[9:12], s[6:7] offset:24 glc
	s_mov_b64 s[8:9], 0
	s_waitcnt vmcnt(0)
	v_cmp_ne_u64_e32 vcc, v[4:5], v[11:12]
	s_and_b64 exec, exec, vcc
	s_cbranch_execz .LBB6_2065
.LBB6_2064:                             ; =>This Inner Loop Header: Depth=1
	s_sleep 1
	global_store_dwordx2 v[6:7], v[4:5], off
	v_mov_b32_e32 v2, s4
	v_mov_b32_e32 v3, s5
	s_waitcnt vmcnt(0)
	global_atomic_cmpswap_x2 v[2:3], v8, v[2:5], s[6:7] offset:24 glc
	s_waitcnt vmcnt(0)
	v_cmp_eq_u64_e32 vcc, v[2:3], v[4:5]
	v_mov_b32_e32 v5, v3
	s_or_b64 s[8:9], vcc, s[8:9]
	v_mov_b32_e32 v4, v2
	s_andn2_b64 exec, exec, s[8:9]
	s_cbranch_execnz .LBB6_2064
.LBB6_2065:
	s_or_b64 exec, exec, s[10:11]
	s_getpc_b64 s[8:9]
	s_add_u32 s8, s8, .str.28@rel32@lo+4
	s_addc_u32 s9, s9, .str.28@rel32@hi+12
	s_cmp_lg_u64 s[8:9], 0
	buffer_store_dword v15, off, s[0:3], s33 offset:168 ; 4-byte Folded Spill
	s_nop 0
	buffer_store_dword v16, off, s[0:3], s33 offset:172 ; 4-byte Folded Spill
	s_cbranch_scc0 .LBB6_2158
; %bb.2066:
	s_waitcnt vmcnt(2)
	v_and_b32_e32 v6, -3, v0
	v_mov_b32_e32 v7, v1
	s_mov_b64 s[10:11], 35
	v_mov_b32_e32 v26, 0
	v_mov_b32_e32 v4, 2
	;; [unrolled: 1-line block ×3, first 2 shown]
	s_branch .LBB6_2068
.LBB6_2067:                             ;   in Loop: Header=BB6_2068 Depth=1
	s_or_b64 exec, exec, s[16:17]
	s_sub_u32 s10, s10, s12
	s_subb_u32 s11, s11, s13
	s_add_u32 s8, s8, s12
	s_addc_u32 s9, s9, s13
	s_cmp_lg_u64 s[10:11], 0
	s_cbranch_scc0 .LBB6_2157
.LBB6_2068:                             ; =>This Loop Header: Depth=1
                                        ;     Child Loop BB6_2071 Depth 2
                                        ;     Child Loop BB6_2080 Depth 2
	;; [unrolled: 1-line block ×11, first 2 shown]
	v_cmp_lt_u64_e64 s[4:5], s[10:11], 56
	v_cmp_gt_u64_e64 s[14:15], s[10:11], 7
	s_and_b64 s[4:5], s[4:5], exec
	s_cselect_b32 s13, s11, 0
	s_cselect_b32 s12, s10, 56
	s_add_u32 s4, s8, 8
	s_addc_u32 s5, s9, 0
	s_and_b64 vcc, exec, s[14:15]
	s_cbranch_vccnz .LBB6_2072
; %bb.2069:                             ;   in Loop: Header=BB6_2068 Depth=1
	s_cmp_eq_u64 s[10:11], 0
	s_cbranch_scc1 .LBB6_2073
; %bb.2070:                             ;   in Loop: Header=BB6_2068 Depth=1
	s_waitcnt vmcnt(0)
	v_mov_b32_e32 v8, 0
	s_lshl_b64 s[4:5], s[12:13], 3
	s_mov_b64 s[14:15], 0
	v_mov_b32_e32 v9, 0
	s_mov_b64 s[16:17], s[8:9]
.LBB6_2071:                             ;   Parent Loop BB6_2068 Depth=1
                                        ; =>  This Inner Loop Header: Depth=2
	global_load_ubyte v2, v26, s[16:17]
	s_waitcnt vmcnt(0)
	v_and_b32_e32 v25, 0xffff, v2
	v_lshlrev_b64 v[2:3], s14, v[25:26]
	s_add_u32 s14, s14, 8
	s_addc_u32 s15, s15, 0
	s_add_u32 s16, s16, 1
	s_addc_u32 s17, s17, 0
	v_or_b32_e32 v8, v2, v8
	s_cmp_lg_u32 s4, s14
	v_or_b32_e32 v9, v3, v9
	s_cbranch_scc1 .LBB6_2071
	s_branch .LBB6_2074
.LBB6_2072:                             ;   in Loop: Header=BB6_2068 Depth=1
	s_mov_b64 s[14:15], -1
	s_branch .LBB6_2075
.LBB6_2073:                             ;   in Loop: Header=BB6_2068 Depth=1
	s_waitcnt vmcnt(0)
	v_mov_b32_e32 v8, 0
	v_mov_b32_e32 v9, 0
.LBB6_2074:                             ;   in Loop: Header=BB6_2068 Depth=1
	s_mov_b64 s[14:15], 0
	s_mov_b64 s[4:5], s[8:9]
.LBB6_2075:                             ;   in Loop: Header=BB6_2068 Depth=1
	s_andn2_b64 vcc, exec, s[14:15]
	s_mov_b32 s18, 0
	s_cbranch_vccnz .LBB6_2077
; %bb.2076:                             ;   in Loop: Header=BB6_2068 Depth=1
	global_load_dwordx2 v[8:9], v26, s[8:9]
	s_add_i32 s18, s12, -8
.LBB6_2077:                             ;   in Loop: Header=BB6_2068 Depth=1
	s_add_u32 s14, s4, 8
	s_addc_u32 s15, s5, 0
	s_cmp_gt_u32 s18, 7
	s_cbranch_scc1 .LBB6_2081
; %bb.2078:                             ;   in Loop: Header=BB6_2068 Depth=1
	s_cmp_eq_u32 s18, 0
	s_cbranch_scc1 .LBB6_2082
; %bb.2079:                             ;   in Loop: Header=BB6_2068 Depth=1
	v_mov_b32_e32 v10, 0
	s_mov_b64 s[14:15], 0
	v_mov_b32_e32 v11, 0
	s_mov_b64 s[16:17], 0
.LBB6_2080:                             ;   Parent Loop BB6_2068 Depth=1
                                        ; =>  This Inner Loop Header: Depth=2
	s_add_u32 s20, s4, s16
	s_addc_u32 s21, s5, s17
	global_load_ubyte v2, v26, s[20:21]
	s_add_u32 s16, s16, 1
	s_addc_u32 s17, s17, 0
	s_waitcnt vmcnt(0)
	v_and_b32_e32 v25, 0xffff, v2
	v_lshlrev_b64 v[2:3], s14, v[25:26]
	s_add_u32 s14, s14, 8
	s_addc_u32 s15, s15, 0
	v_or_b32_e32 v10, v2, v10
	s_cmp_lg_u32 s18, s16
	v_or_b32_e32 v11, v3, v11
	s_cbranch_scc1 .LBB6_2080
	s_branch .LBB6_2083
.LBB6_2081:                             ;   in Loop: Header=BB6_2068 Depth=1
	s_mov_b64 s[16:17], -1
                                        ; implicit-def: $vgpr10_vgpr11
	s_branch .LBB6_2084
.LBB6_2082:                             ;   in Loop: Header=BB6_2068 Depth=1
	v_mov_b32_e32 v10, 0
	v_mov_b32_e32 v11, 0
.LBB6_2083:                             ;   in Loop: Header=BB6_2068 Depth=1
	s_mov_b64 s[16:17], 0
	s_mov_b64 s[14:15], s[4:5]
.LBB6_2084:                             ;   in Loop: Header=BB6_2068 Depth=1
	s_andn2_b64 vcc, exec, s[16:17]
	s_mov_b32 s19, 0
	s_cbranch_vccnz .LBB6_2086
; %bb.2085:                             ;   in Loop: Header=BB6_2068 Depth=1
	global_load_dwordx2 v[10:11], v26, s[4:5]
	s_add_i32 s19, s18, -8
.LBB6_2086:                             ;   in Loop: Header=BB6_2068 Depth=1
	s_add_u32 s4, s14, 8
	s_addc_u32 s5, s15, 0
	s_cmp_gt_u32 s19, 7
	s_cbranch_scc1 .LBB6_2090
; %bb.2087:                             ;   in Loop: Header=BB6_2068 Depth=1
	s_cmp_eq_u32 s19, 0
	s_cbranch_scc1 .LBB6_2091
; %bb.2088:                             ;   in Loop: Header=BB6_2068 Depth=1
	v_mov_b32_e32 v12, 0
	s_mov_b64 s[4:5], 0
	v_mov_b32_e32 v13, 0
	s_mov_b64 s[16:17], 0
.LBB6_2089:                             ;   Parent Loop BB6_2068 Depth=1
                                        ; =>  This Inner Loop Header: Depth=2
	s_add_u32 s20, s14, s16
	s_addc_u32 s21, s15, s17
	global_load_ubyte v2, v26, s[20:21]
	s_add_u32 s16, s16, 1
	s_addc_u32 s17, s17, 0
	s_waitcnt vmcnt(0)
	v_and_b32_e32 v25, 0xffff, v2
	v_lshlrev_b64 v[2:3], s4, v[25:26]
	s_add_u32 s4, s4, 8
	s_addc_u32 s5, s5, 0
	v_or_b32_e32 v12, v2, v12
	s_cmp_lg_u32 s19, s16
	v_or_b32_e32 v13, v3, v13
	s_cbranch_scc1 .LBB6_2089
	s_branch .LBB6_2092
.LBB6_2090:                             ;   in Loop: Header=BB6_2068 Depth=1
	s_mov_b64 s[16:17], -1
	s_branch .LBB6_2093
.LBB6_2091:                             ;   in Loop: Header=BB6_2068 Depth=1
	v_mov_b32_e32 v12, 0
	v_mov_b32_e32 v13, 0
.LBB6_2092:                             ;   in Loop: Header=BB6_2068 Depth=1
	s_mov_b64 s[16:17], 0
	s_mov_b64 s[4:5], s[14:15]
.LBB6_2093:                             ;   in Loop: Header=BB6_2068 Depth=1
	s_andn2_b64 vcc, exec, s[16:17]
	s_mov_b32 s18, 0
	s_cbranch_vccnz .LBB6_2095
; %bb.2094:                             ;   in Loop: Header=BB6_2068 Depth=1
	global_load_dwordx2 v[12:13], v26, s[14:15]
	s_add_i32 s18, s19, -8
.LBB6_2095:                             ;   in Loop: Header=BB6_2068 Depth=1
	s_add_u32 s14, s4, 8
	s_addc_u32 s15, s5, 0
	s_cmp_gt_u32 s18, 7
	s_cbranch_scc1 .LBB6_2099
; %bb.2096:                             ;   in Loop: Header=BB6_2068 Depth=1
	s_cmp_eq_u32 s18, 0
	s_cbranch_scc1 .LBB6_2100
; %bb.2097:                             ;   in Loop: Header=BB6_2068 Depth=1
	v_mov_b32_e32 v14, 0
	s_mov_b64 s[14:15], 0
	v_mov_b32_e32 v15, 0
	s_mov_b64 s[16:17], 0
.LBB6_2098:                             ;   Parent Loop BB6_2068 Depth=1
                                        ; =>  This Inner Loop Header: Depth=2
	s_add_u32 s20, s4, s16
	s_addc_u32 s21, s5, s17
	global_load_ubyte v2, v26, s[20:21]
	s_add_u32 s16, s16, 1
	s_addc_u32 s17, s17, 0
	s_waitcnt vmcnt(0)
	v_and_b32_e32 v25, 0xffff, v2
	v_lshlrev_b64 v[2:3], s14, v[25:26]
	s_add_u32 s14, s14, 8
	s_addc_u32 s15, s15, 0
	v_or_b32_e32 v14, v2, v14
	s_cmp_lg_u32 s18, s16
	v_or_b32_e32 v15, v3, v15
	s_cbranch_scc1 .LBB6_2098
	s_branch .LBB6_2101
.LBB6_2099:                             ;   in Loop: Header=BB6_2068 Depth=1
	s_mov_b64 s[16:17], -1
                                        ; implicit-def: $vgpr14_vgpr15
	s_branch .LBB6_2102
.LBB6_2100:                             ;   in Loop: Header=BB6_2068 Depth=1
	v_mov_b32_e32 v14, 0
	v_mov_b32_e32 v15, 0
.LBB6_2101:                             ;   in Loop: Header=BB6_2068 Depth=1
	s_mov_b64 s[16:17], 0
	s_mov_b64 s[14:15], s[4:5]
.LBB6_2102:                             ;   in Loop: Header=BB6_2068 Depth=1
	s_andn2_b64 vcc, exec, s[16:17]
	s_mov_b32 s19, 0
	s_cbranch_vccnz .LBB6_2104
; %bb.2103:                             ;   in Loop: Header=BB6_2068 Depth=1
	global_load_dwordx2 v[14:15], v26, s[4:5]
	s_add_i32 s19, s18, -8
.LBB6_2104:                             ;   in Loop: Header=BB6_2068 Depth=1
	s_add_u32 s4, s14, 8
	s_addc_u32 s5, s15, 0
	s_cmp_gt_u32 s19, 7
	s_cbranch_scc1 .LBB6_2108
; %bb.2105:                             ;   in Loop: Header=BB6_2068 Depth=1
	s_cmp_eq_u32 s19, 0
	s_cbranch_scc1 .LBB6_2109
; %bb.2106:                             ;   in Loop: Header=BB6_2068 Depth=1
	v_mov_b32_e32 v16, 0
	s_mov_b64 s[4:5], 0
	v_mov_b32_e32 v17, 0
	s_mov_b64 s[16:17], 0
.LBB6_2107:                             ;   Parent Loop BB6_2068 Depth=1
                                        ; =>  This Inner Loop Header: Depth=2
	s_add_u32 s20, s14, s16
	s_addc_u32 s21, s15, s17
	global_load_ubyte v2, v26, s[20:21]
	s_add_u32 s16, s16, 1
	s_addc_u32 s17, s17, 0
	s_waitcnt vmcnt(0)
	v_and_b32_e32 v25, 0xffff, v2
	v_lshlrev_b64 v[2:3], s4, v[25:26]
	s_add_u32 s4, s4, 8
	s_addc_u32 s5, s5, 0
	v_or_b32_e32 v16, v2, v16
	s_cmp_lg_u32 s19, s16
	v_or_b32_e32 v17, v3, v17
	s_cbranch_scc1 .LBB6_2107
	s_branch .LBB6_2110
.LBB6_2108:                             ;   in Loop: Header=BB6_2068 Depth=1
	s_mov_b64 s[16:17], -1
	s_branch .LBB6_2111
.LBB6_2109:                             ;   in Loop: Header=BB6_2068 Depth=1
	v_mov_b32_e32 v16, 0
	v_mov_b32_e32 v17, 0
.LBB6_2110:                             ;   in Loop: Header=BB6_2068 Depth=1
	s_mov_b64 s[16:17], 0
	s_mov_b64 s[4:5], s[14:15]
.LBB6_2111:                             ;   in Loop: Header=BB6_2068 Depth=1
	s_andn2_b64 vcc, exec, s[16:17]
	s_mov_b32 s18, 0
	s_cbranch_vccnz .LBB6_2113
; %bb.2112:                             ;   in Loop: Header=BB6_2068 Depth=1
	global_load_dwordx2 v[16:17], v26, s[14:15]
	s_add_i32 s18, s19, -8
.LBB6_2113:                             ;   in Loop: Header=BB6_2068 Depth=1
	s_add_u32 s14, s4, 8
	s_addc_u32 s15, s5, 0
	s_cmp_gt_u32 s18, 7
	s_cbranch_scc1 .LBB6_2117
; %bb.2114:                             ;   in Loop: Header=BB6_2068 Depth=1
	s_cmp_eq_u32 s18, 0
	s_cbranch_scc1 .LBB6_2118
; %bb.2115:                             ;   in Loop: Header=BB6_2068 Depth=1
	v_mov_b32_e32 v18, 0
	s_mov_b64 s[14:15], 0
	v_mov_b32_e32 v19, 0
	s_mov_b64 s[16:17], 0
.LBB6_2116:                             ;   Parent Loop BB6_2068 Depth=1
                                        ; =>  This Inner Loop Header: Depth=2
	s_add_u32 s20, s4, s16
	s_addc_u32 s21, s5, s17
	global_load_ubyte v2, v26, s[20:21]
	s_add_u32 s16, s16, 1
	s_addc_u32 s17, s17, 0
	s_waitcnt vmcnt(0)
	v_and_b32_e32 v25, 0xffff, v2
	v_lshlrev_b64 v[2:3], s14, v[25:26]
	s_add_u32 s14, s14, 8
	s_addc_u32 s15, s15, 0
	v_or_b32_e32 v18, v2, v18
	s_cmp_lg_u32 s18, s16
	v_or_b32_e32 v19, v3, v19
	s_cbranch_scc1 .LBB6_2116
	s_branch .LBB6_2119
.LBB6_2117:                             ;   in Loop: Header=BB6_2068 Depth=1
	s_mov_b64 s[16:17], -1
                                        ; implicit-def: $vgpr18_vgpr19
	s_branch .LBB6_2120
.LBB6_2118:                             ;   in Loop: Header=BB6_2068 Depth=1
	v_mov_b32_e32 v18, 0
	v_mov_b32_e32 v19, 0
.LBB6_2119:                             ;   in Loop: Header=BB6_2068 Depth=1
	s_mov_b64 s[16:17], 0
	s_mov_b64 s[14:15], s[4:5]
.LBB6_2120:                             ;   in Loop: Header=BB6_2068 Depth=1
	s_andn2_b64 vcc, exec, s[16:17]
	s_mov_b32 s19, 0
	s_cbranch_vccnz .LBB6_2122
; %bb.2121:                             ;   in Loop: Header=BB6_2068 Depth=1
	global_load_dwordx2 v[18:19], v26, s[4:5]
	s_add_i32 s19, s18, -8
.LBB6_2122:                             ;   in Loop: Header=BB6_2068 Depth=1
	s_cmp_gt_u32 s19, 7
	s_cbranch_scc1 .LBB6_2126
; %bb.2123:                             ;   in Loop: Header=BB6_2068 Depth=1
	s_cmp_eq_u32 s19, 0
	s_cbranch_scc1 .LBB6_2127
; %bb.2124:                             ;   in Loop: Header=BB6_2068 Depth=1
	v_mov_b32_e32 v20, 0
	s_mov_b64 s[4:5], 0
	v_mov_b32_e32 v21, 0
	s_mov_b64 s[16:17], s[14:15]
.LBB6_2125:                             ;   Parent Loop BB6_2068 Depth=1
                                        ; =>  This Inner Loop Header: Depth=2
	global_load_ubyte v2, v26, s[16:17]
	s_add_i32 s19, s19, -1
	s_waitcnt vmcnt(0)
	v_and_b32_e32 v25, 0xffff, v2
	v_lshlrev_b64 v[2:3], s4, v[25:26]
	s_add_u32 s4, s4, 8
	s_addc_u32 s5, s5, 0
	s_add_u32 s16, s16, 1
	s_addc_u32 s17, s17, 0
	v_or_b32_e32 v20, v2, v20
	s_cmp_lg_u32 s19, 0
	v_or_b32_e32 v21, v3, v21
	s_cbranch_scc1 .LBB6_2125
	s_branch .LBB6_2128
.LBB6_2126:                             ;   in Loop: Header=BB6_2068 Depth=1
	s_mov_b64 s[4:5], -1
	s_branch .LBB6_2129
.LBB6_2127:                             ;   in Loop: Header=BB6_2068 Depth=1
	v_mov_b32_e32 v20, 0
	v_mov_b32_e32 v21, 0
.LBB6_2128:                             ;   in Loop: Header=BB6_2068 Depth=1
	s_mov_b64 s[4:5], 0
.LBB6_2129:                             ;   in Loop: Header=BB6_2068 Depth=1
	s_andn2_b64 vcc, exec, s[4:5]
	s_cbranch_vccnz .LBB6_2131
; %bb.2130:                             ;   in Loop: Header=BB6_2068 Depth=1
	global_load_dwordx2 v[20:21], v26, s[14:15]
.LBB6_2131:                             ;   in Loop: Header=BB6_2068 Depth=1
	v_readfirstlane_b32 s4, v30
	v_mov_b32_e32 v2, 0
	v_mov_b32_e32 v3, 0
	v_cmp_eq_u32_e64 s[4:5], s4, v30
	s_and_saveexec_b64 s[14:15], s[4:5]
	s_cbranch_execz .LBB6_2137
; %bb.2132:                             ;   in Loop: Header=BB6_2068 Depth=1
	global_load_dwordx2 v[24:25], v26, s[6:7] offset:24 glc
	s_waitcnt vmcnt(0)
	buffer_wbinvl1_vol
	global_load_dwordx2 v[2:3], v26, s[6:7] offset:40
	global_load_dwordx2 v[22:23], v26, s[6:7]
	s_waitcnt vmcnt(1)
	v_and_b32_e32 v2, v2, v24
	v_and_b32_e32 v3, v3, v25
	v_mul_lo_u32 v3, v3, 24
	v_mul_hi_u32 v27, v2, 24
	v_mul_lo_u32 v2, v2, 24
	v_add_u32_e32 v3, v27, v3
	s_waitcnt vmcnt(0)
	v_add_co_u32_e32 v2, vcc, v22, v2
	v_addc_co_u32_e32 v3, vcc, v23, v3, vcc
	global_load_dwordx2 v[22:23], v[2:3], off glc
	s_waitcnt vmcnt(0)
	global_atomic_cmpswap_x2 v[2:3], v26, v[22:25], s[6:7] offset:24 glc
	s_waitcnt vmcnt(0)
	buffer_wbinvl1_vol
	v_cmp_ne_u64_e32 vcc, v[2:3], v[24:25]
	s_and_saveexec_b64 s[16:17], vcc
	s_cbranch_execz .LBB6_2136
; %bb.2133:                             ;   in Loop: Header=BB6_2068 Depth=1
	s_mov_b64 s[18:19], 0
.LBB6_2134:                             ;   Parent Loop BB6_2068 Depth=1
                                        ; =>  This Inner Loop Header: Depth=2
	s_sleep 1
	global_load_dwordx2 v[22:23], v26, s[6:7] offset:40
	global_load_dwordx2 v[27:28], v26, s[6:7]
	v_mov_b32_e32 v25, v3
	v_mov_b32_e32 v24, v2
	s_waitcnt vmcnt(1)
	v_and_b32_e32 v2, v22, v24
	s_waitcnt vmcnt(0)
	v_mad_u64_u32 v[2:3], s[20:21], v2, 24, v[27:28]
	v_and_b32_e32 v22, v23, v25
	v_mad_u64_u32 v[22:23], s[20:21], v22, 24, v[3:4]
	v_mov_b32_e32 v3, v22
	global_load_dwordx2 v[22:23], v[2:3], off glc
	s_waitcnt vmcnt(0)
	global_atomic_cmpswap_x2 v[2:3], v26, v[22:25], s[6:7] offset:24 glc
	s_waitcnt vmcnt(0)
	buffer_wbinvl1_vol
	v_cmp_eq_u64_e32 vcc, v[2:3], v[24:25]
	s_or_b64 s[18:19], vcc, s[18:19]
	s_andn2_b64 exec, exec, s[18:19]
	s_cbranch_execnz .LBB6_2134
; %bb.2135:                             ;   in Loop: Header=BB6_2068 Depth=1
	s_or_b64 exec, exec, s[18:19]
.LBB6_2136:                             ;   in Loop: Header=BB6_2068 Depth=1
	s_or_b64 exec, exec, s[16:17]
.LBB6_2137:                             ;   in Loop: Header=BB6_2068 Depth=1
	s_or_b64 exec, exec, s[14:15]
	global_load_dwordx2 v[27:28], v26, s[6:7] offset:40
	global_load_dwordx4 v[22:25], v26, s[6:7]
	v_readfirstlane_b32 s15, v3
	v_readfirstlane_b32 s14, v2
	s_mov_b64 s[16:17], exec
	s_waitcnt vmcnt(1)
	v_readfirstlane_b32 s18, v27
	v_readfirstlane_b32 s19, v28
	s_and_b64 s[18:19], s[18:19], s[14:15]
	s_mul_i32 s20, s19, 24
	s_mul_hi_u32 s21, s18, 24
	s_mul_i32 s22, s18, 24
	s_add_i32 s20, s21, s20
	v_mov_b32_e32 v2, s20
	s_waitcnt vmcnt(0)
	v_add_co_u32_e32 v27, vcc, s22, v22
	v_addc_co_u32_e32 v28, vcc, v23, v2, vcc
	s_and_saveexec_b64 s[20:21], s[4:5]
	s_cbranch_execz .LBB6_2139
; %bb.2138:                             ;   in Loop: Header=BB6_2068 Depth=1
	v_mov_b32_e32 v2, s16
	v_mov_b32_e32 v3, s17
	global_store_dwordx4 v[27:28], v[2:5], off offset:8
.LBB6_2139:                             ;   in Loop: Header=BB6_2068 Depth=1
	s_or_b64 exec, exec, s[20:21]
	s_lshl_b64 s[16:17], s[18:19], 12
	v_cmp_gt_u64_e64 s[18:19], s[10:11], 56
	v_mov_b32_e32 v2, s17
	v_add_co_u32_e32 v24, vcc, s16, v24
	s_and_b64 s[16:17], s[18:19], exec
	s_cselect_b32 s16, 0, 2
	s_lshl_b32 s17, s12, 2
	v_addc_co_u32_e32 v31, vcc, v25, v2, vcc
	s_add_i32 s17, s17, 28
	v_and_b32_e32 v2, 0xffffff1f, v6
	s_and_b32 s17, s17, 0x1e0
	v_or_b32_e32 v2, s16, v2
	v_or_b32_e32 v6, s17, v2
	v_readfirstlane_b32 s16, v24
	v_readfirstlane_b32 s17, v31
	s_nop 4
	global_store_dwordx4 v29, v[6:9], s[16:17]
	global_store_dwordx4 v29, v[10:13], s[16:17] offset:16
	global_store_dwordx4 v29, v[14:17], s[16:17] offset:32
	;; [unrolled: 1-line block ×3, first 2 shown]
	s_and_saveexec_b64 s[16:17], s[4:5]
	s_cbranch_execz .LBB6_2147
; %bb.2140:                             ;   in Loop: Header=BB6_2068 Depth=1
	global_load_dwordx2 v[10:11], v26, s[6:7] offset:32 glc
	global_load_dwordx2 v[2:3], v26, s[6:7] offset:40
	v_mov_b32_e32 v8, s14
	v_mov_b32_e32 v9, s15
	s_waitcnt vmcnt(0)
	v_readfirstlane_b32 s18, v2
	v_readfirstlane_b32 s19, v3
	s_and_b64 s[18:19], s[18:19], s[14:15]
	s_mul_i32 s19, s19, 24
	s_mul_hi_u32 s20, s18, 24
	s_mul_i32 s18, s18, 24
	s_add_i32 s19, s20, s19
	v_mov_b32_e32 v3, s19
	v_add_co_u32_e32 v2, vcc, s18, v22
	v_addc_co_u32_e32 v3, vcc, v23, v3, vcc
	global_store_dwordx2 v[2:3], v[10:11], off
	s_waitcnt vmcnt(0)
	global_atomic_cmpswap_x2 v[8:9], v26, v[8:11], s[6:7] offset:32 glc
	s_waitcnt vmcnt(0)
	v_cmp_ne_u64_e32 vcc, v[8:9], v[10:11]
	s_and_saveexec_b64 s[18:19], vcc
	s_cbranch_execz .LBB6_2143
; %bb.2141:                             ;   in Loop: Header=BB6_2068 Depth=1
	s_mov_b64 s[20:21], 0
.LBB6_2142:                             ;   Parent Loop BB6_2068 Depth=1
                                        ; =>  This Inner Loop Header: Depth=2
	s_sleep 1
	global_store_dwordx2 v[2:3], v[8:9], off
	v_mov_b32_e32 v6, s14
	v_mov_b32_e32 v7, s15
	s_waitcnt vmcnt(0)
	global_atomic_cmpswap_x2 v[6:7], v26, v[6:9], s[6:7] offset:32 glc
	s_waitcnt vmcnt(0)
	v_cmp_eq_u64_e32 vcc, v[6:7], v[8:9]
	v_mov_b32_e32 v9, v7
	s_or_b64 s[20:21], vcc, s[20:21]
	v_mov_b32_e32 v8, v6
	s_andn2_b64 exec, exec, s[20:21]
	s_cbranch_execnz .LBB6_2142
.LBB6_2143:                             ;   in Loop: Header=BB6_2068 Depth=1
	s_or_b64 exec, exec, s[18:19]
	global_load_dwordx2 v[2:3], v26, s[6:7] offset:16
	s_mov_b64 s[20:21], exec
	v_mbcnt_lo_u32_b32 v6, s20, 0
	v_mbcnt_hi_u32_b32 v6, s21, v6
	v_cmp_eq_u32_e32 vcc, 0, v6
	s_and_saveexec_b64 s[18:19], vcc
	s_cbranch_execz .LBB6_2145
; %bb.2144:                             ;   in Loop: Header=BB6_2068 Depth=1
	s_bcnt1_i32_b64 s20, s[20:21]
	v_mov_b32_e32 v25, s20
	s_waitcnt vmcnt(0)
	global_atomic_add_x2 v[2:3], v[25:26], off offset:8
.LBB6_2145:                             ;   in Loop: Header=BB6_2068 Depth=1
	s_or_b64 exec, exec, s[18:19]
	s_waitcnt vmcnt(0)
	global_load_dwordx2 v[6:7], v[2:3], off offset:16
	s_waitcnt vmcnt(0)
	v_cmp_eq_u64_e32 vcc, 0, v[6:7]
	s_cbranch_vccnz .LBB6_2147
; %bb.2146:                             ;   in Loop: Header=BB6_2068 Depth=1
	global_load_dword v25, v[2:3], off offset:24
	s_waitcnt vmcnt(0)
	v_readfirstlane_b32 s18, v25
	s_and_b32 m0, s18, 0xffffff
	global_store_dwordx2 v[6:7], v[25:26], off
	s_sendmsg sendmsg(MSG_INTERRUPT)
.LBB6_2147:                             ;   in Loop: Header=BB6_2068 Depth=1
	s_or_b64 exec, exec, s[16:17]
	v_add_co_u32_e32 v2, vcc, v24, v29
	v_addc_co_u32_e32 v3, vcc, 0, v31, vcc
	s_branch .LBB6_2151
.LBB6_2148:                             ;   in Loop: Header=BB6_2151 Depth=2
	s_or_b64 exec, exec, s[16:17]
	v_readfirstlane_b32 s16, v6
	s_cmp_eq_u32 s16, 0
	s_cbranch_scc1 .LBB6_2150
; %bb.2149:                             ;   in Loop: Header=BB6_2151 Depth=2
	s_sleep 1
	s_cbranch_execnz .LBB6_2151
	s_branch .LBB6_2153
.LBB6_2150:                             ;   in Loop: Header=BB6_2068 Depth=1
	s_branch .LBB6_2153
.LBB6_2151:                             ;   Parent Loop BB6_2068 Depth=1
                                        ; =>  This Inner Loop Header: Depth=2
	v_mov_b32_e32 v6, 1
	s_and_saveexec_b64 s[16:17], s[4:5]
	s_cbranch_execz .LBB6_2148
; %bb.2152:                             ;   in Loop: Header=BB6_2151 Depth=2
	global_load_dword v6, v[27:28], off offset:20 glc
	s_waitcnt vmcnt(0)
	buffer_wbinvl1_vol
	v_and_b32_e32 v6, 1, v6
	s_branch .LBB6_2148
.LBB6_2153:                             ;   in Loop: Header=BB6_2068 Depth=1
	global_load_dwordx4 v[6:9], v[2:3], off
	s_and_saveexec_b64 s[16:17], s[4:5]
	s_cbranch_execz .LBB6_2067
; %bb.2154:                             ;   in Loop: Header=BB6_2068 Depth=1
	global_load_dwordx2 v[2:3], v26, s[6:7] offset:40
	global_load_dwordx2 v[12:13], v26, s[6:7] offset:24 glc
	global_load_dwordx2 v[8:9], v26, s[6:7]
	s_waitcnt vmcnt(2)
	v_readfirstlane_b32 s18, v2
	v_readfirstlane_b32 s19, v3
	s_add_u32 s20, s18, 1
	s_addc_u32 s21, s19, 0
	s_add_u32 s4, s20, s14
	s_addc_u32 s5, s21, s15
	s_cmp_eq_u64 s[4:5], 0
	s_cselect_b32 s5, s21, s5
	s_cselect_b32 s4, s20, s4
	s_and_b64 s[14:15], s[4:5], s[18:19]
	s_mul_i32 s15, s15, 24
	s_mul_hi_u32 s18, s14, 24
	s_mul_i32 s14, s14, 24
	s_add_i32 s15, s18, s15
	v_mov_b32_e32 v3, s15
	s_waitcnt vmcnt(0)
	v_add_co_u32_e32 v2, vcc, s14, v8
	v_addc_co_u32_e32 v3, vcc, v9, v3, vcc
	v_mov_b32_e32 v10, s4
	global_store_dwordx2 v[2:3], v[12:13], off
	v_mov_b32_e32 v11, s5
	s_waitcnt vmcnt(0)
	global_atomic_cmpswap_x2 v[10:11], v26, v[10:13], s[6:7] offset:24 glc
	s_waitcnt vmcnt(0)
	v_cmp_ne_u64_e32 vcc, v[10:11], v[12:13]
	s_and_b64 exec, exec, vcc
	s_cbranch_execz .LBB6_2067
; %bb.2155:                             ;   in Loop: Header=BB6_2068 Depth=1
	s_mov_b64 s[14:15], 0
.LBB6_2156:                             ;   Parent Loop BB6_2068 Depth=1
                                        ; =>  This Inner Loop Header: Depth=2
	s_sleep 1
	global_store_dwordx2 v[2:3], v[10:11], off
	v_mov_b32_e32 v8, s4
	v_mov_b32_e32 v9, s5
	s_waitcnt vmcnt(0)
	global_atomic_cmpswap_x2 v[8:9], v26, v[8:11], s[6:7] offset:24 glc
	s_waitcnt vmcnt(0)
	v_cmp_eq_u64_e32 vcc, v[8:9], v[10:11]
	v_mov_b32_e32 v11, v9
	s_or_b64 s[14:15], vcc, s[14:15]
	v_mov_b32_e32 v10, v8
	s_andn2_b64 exec, exec, s[14:15]
	s_cbranch_execnz .LBB6_2156
	s_branch .LBB6_2067
.LBB6_2157:
	s_mov_b64 s[4:5], 0
	s_branch .LBB6_2159
.LBB6_2158:
	s_mov_b64 s[4:5], -1
.LBB6_2159:
	s_and_b64 vcc, exec, s[4:5]
	s_cbranch_vccz .LBB6_2186
; %bb.2160:
	v_readfirstlane_b32 s4, v30
	s_waitcnt vmcnt(0)
	v_mov_b32_e32 v8, 0
	v_mov_b32_e32 v9, 0
	v_cmp_eq_u32_e64 s[4:5], s4, v30
	s_and_saveexec_b64 s[8:9], s[4:5]
	s_cbranch_execz .LBB6_2166
; %bb.2161:
	v_mov_b32_e32 v2, 0
	global_load_dwordx2 v[5:6], v2, s[6:7] offset:24 glc
	s_waitcnt vmcnt(0)
	buffer_wbinvl1_vol
	global_load_dwordx2 v[3:4], v2, s[6:7] offset:40
	global_load_dwordx2 v[7:8], v2, s[6:7]
	s_waitcnt vmcnt(1)
	v_and_b32_e32 v3, v3, v5
	v_and_b32_e32 v4, v4, v6
	v_mul_lo_u32 v4, v4, 24
	v_mul_hi_u32 v9, v3, 24
	v_mul_lo_u32 v3, v3, 24
	v_add_u32_e32 v4, v9, v4
	s_waitcnt vmcnt(0)
	v_add_co_u32_e32 v3, vcc, v7, v3
	v_addc_co_u32_e32 v4, vcc, v8, v4, vcc
	global_load_dwordx2 v[3:4], v[3:4], off glc
	s_waitcnt vmcnt(0)
	global_atomic_cmpswap_x2 v[8:9], v2, v[3:6], s[6:7] offset:24 glc
	s_waitcnt vmcnt(0)
	buffer_wbinvl1_vol
	v_cmp_ne_u64_e32 vcc, v[8:9], v[5:6]
	s_and_saveexec_b64 s[10:11], vcc
	s_cbranch_execz .LBB6_2165
; %bb.2162:
	s_mov_b64 s[12:13], 0
.LBB6_2163:                             ; =>This Inner Loop Header: Depth=1
	s_sleep 1
	global_load_dwordx2 v[3:4], v2, s[6:7] offset:40
	global_load_dwordx2 v[10:11], v2, s[6:7]
	v_mov_b32_e32 v5, v8
	v_mov_b32_e32 v6, v9
	s_waitcnt vmcnt(1)
	v_and_b32_e32 v3, v3, v5
	s_waitcnt vmcnt(0)
	v_mad_u64_u32 v[7:8], s[14:15], v3, 24, v[10:11]
	v_and_b32_e32 v4, v4, v6
	v_mov_b32_e32 v3, v8
	v_mad_u64_u32 v[3:4], s[14:15], v4, 24, v[3:4]
	v_mov_b32_e32 v8, v3
	global_load_dwordx2 v[3:4], v[7:8], off glc
	s_waitcnt vmcnt(0)
	global_atomic_cmpswap_x2 v[8:9], v2, v[3:6], s[6:7] offset:24 glc
	s_waitcnt vmcnt(0)
	buffer_wbinvl1_vol
	v_cmp_eq_u64_e32 vcc, v[8:9], v[5:6]
	s_or_b64 s[12:13], vcc, s[12:13]
	s_andn2_b64 exec, exec, s[12:13]
	s_cbranch_execnz .LBB6_2163
; %bb.2164:
	s_or_b64 exec, exec, s[12:13]
.LBB6_2165:
	s_or_b64 exec, exec, s[10:11]
.LBB6_2166:
	s_or_b64 exec, exec, s[8:9]
	v_mov_b32_e32 v2, 0
	global_load_dwordx2 v[10:11], v2, s[6:7] offset:40
	global_load_dwordx4 v[4:7], v2, s[6:7]
	v_readfirstlane_b32 s9, v9
	v_readfirstlane_b32 s8, v8
	s_mov_b64 s[10:11], exec
	s_waitcnt vmcnt(1)
	v_readfirstlane_b32 s12, v10
	v_readfirstlane_b32 s13, v11
	s_and_b64 s[12:13], s[12:13], s[8:9]
	s_mul_i32 s14, s13, 24
	s_mul_hi_u32 s15, s12, 24
	s_mul_i32 s16, s12, 24
	s_add_i32 s14, s15, s14
	v_mov_b32_e32 v3, s14
	s_waitcnt vmcnt(0)
	v_add_co_u32_e32 v8, vcc, s16, v4
	v_addc_co_u32_e32 v9, vcc, v5, v3, vcc
	s_and_saveexec_b64 s[14:15], s[4:5]
	s_cbranch_execz .LBB6_2168
; %bb.2167:
	v_mov_b32_e32 v10, s10
	v_mov_b32_e32 v11, s11
	;; [unrolled: 1-line block ×4, first 2 shown]
	global_store_dwordx4 v[8:9], v[10:13], off offset:8
.LBB6_2168:
	s_or_b64 exec, exec, s[14:15]
	s_lshl_b64 s[10:11], s[12:13], 12
	v_mov_b32_e32 v3, s11
	v_add_co_u32_e32 v6, vcc, s10, v6
	v_addc_co_u32_e32 v7, vcc, v7, v3, vcc
	s_movk_i32 s10, 0xff1d
	v_and_or_b32 v0, v0, s10, 34
	s_mov_b32 s12, 0
	v_mov_b32_e32 v3, v2
	v_readfirstlane_b32 s10, v6
	v_readfirstlane_b32 s11, v7
	s_mov_b32 s13, s12
	s_mov_b32 s14, s12
	s_mov_b32 s15, s12
	s_nop 1
	global_store_dwordx4 v29, v[0:3], s[10:11]
	s_nop 0
	v_mov_b32_e32 v0, s12
	v_mov_b32_e32 v1, s13
	v_mov_b32_e32 v2, s14
	v_mov_b32_e32 v3, s15
	global_store_dwordx4 v29, v[0:3], s[10:11] offset:16
	global_store_dwordx4 v29, v[0:3], s[10:11] offset:32
	;; [unrolled: 1-line block ×3, first 2 shown]
	s_and_saveexec_b64 s[10:11], s[4:5]
	s_cbranch_execz .LBB6_2176
; %bb.2169:
	v_mov_b32_e32 v6, 0
	global_load_dwordx2 v[12:13], v6, s[6:7] offset:32 glc
	global_load_dwordx2 v[0:1], v6, s[6:7] offset:40
	v_mov_b32_e32 v10, s8
	v_mov_b32_e32 v11, s9
	s_waitcnt vmcnt(0)
	v_readfirstlane_b32 s12, v0
	v_readfirstlane_b32 s13, v1
	s_and_b64 s[12:13], s[12:13], s[8:9]
	s_mul_i32 s13, s13, 24
	s_mul_hi_u32 s14, s12, 24
	s_mul_i32 s12, s12, 24
	s_add_i32 s13, s14, s13
	v_mov_b32_e32 v0, s13
	v_add_co_u32_e32 v4, vcc, s12, v4
	v_addc_co_u32_e32 v5, vcc, v5, v0, vcc
	global_store_dwordx2 v[4:5], v[12:13], off
	s_waitcnt vmcnt(0)
	global_atomic_cmpswap_x2 v[2:3], v6, v[10:13], s[6:7] offset:32 glc
	s_waitcnt vmcnt(0)
	v_cmp_ne_u64_e32 vcc, v[2:3], v[12:13]
	s_and_saveexec_b64 s[12:13], vcc
	s_cbranch_execz .LBB6_2172
; %bb.2170:
	s_mov_b64 s[14:15], 0
.LBB6_2171:                             ; =>This Inner Loop Header: Depth=1
	s_sleep 1
	global_store_dwordx2 v[4:5], v[2:3], off
	v_mov_b32_e32 v0, s8
	v_mov_b32_e32 v1, s9
	s_waitcnt vmcnt(0)
	global_atomic_cmpswap_x2 v[0:1], v6, v[0:3], s[6:7] offset:32 glc
	s_waitcnt vmcnt(0)
	v_cmp_eq_u64_e32 vcc, v[0:1], v[2:3]
	v_mov_b32_e32 v3, v1
	s_or_b64 s[14:15], vcc, s[14:15]
	v_mov_b32_e32 v2, v0
	s_andn2_b64 exec, exec, s[14:15]
	s_cbranch_execnz .LBB6_2171
.LBB6_2172:
	s_or_b64 exec, exec, s[12:13]
	v_mov_b32_e32 v3, 0
	global_load_dwordx2 v[0:1], v3, s[6:7] offset:16
	s_mov_b64 s[12:13], exec
	v_mbcnt_lo_u32_b32 v2, s12, 0
	v_mbcnt_hi_u32_b32 v2, s13, v2
	v_cmp_eq_u32_e32 vcc, 0, v2
	s_and_saveexec_b64 s[14:15], vcc
	s_cbranch_execz .LBB6_2174
; %bb.2173:
	s_bcnt1_i32_b64 s12, s[12:13]
	v_mov_b32_e32 v2, s12
	s_waitcnt vmcnt(0)
	global_atomic_add_x2 v[0:1], v[2:3], off offset:8
.LBB6_2174:
	s_or_b64 exec, exec, s[14:15]
	s_waitcnt vmcnt(0)
	global_load_dwordx2 v[2:3], v[0:1], off offset:16
	s_waitcnt vmcnt(0)
	v_cmp_eq_u64_e32 vcc, 0, v[2:3]
	s_cbranch_vccnz .LBB6_2176
; %bb.2175:
	global_load_dword v0, v[0:1], off offset:24
	v_mov_b32_e32 v1, 0
	s_waitcnt vmcnt(0)
	v_readfirstlane_b32 s12, v0
	s_and_b32 m0, s12, 0xffffff
	global_store_dwordx2 v[2:3], v[0:1], off
	s_sendmsg sendmsg(MSG_INTERRUPT)
.LBB6_2176:
	s_or_b64 exec, exec, s[10:11]
	s_branch .LBB6_2180
.LBB6_2177:                             ;   in Loop: Header=BB6_2180 Depth=1
	s_or_b64 exec, exec, s[10:11]
	v_readfirstlane_b32 s10, v0
	s_cmp_eq_u32 s10, 0
	s_cbranch_scc1 .LBB6_2179
; %bb.2178:                             ;   in Loop: Header=BB6_2180 Depth=1
	s_sleep 1
	s_cbranch_execnz .LBB6_2180
	s_branch .LBB6_2182
.LBB6_2179:
	s_branch .LBB6_2182
.LBB6_2180:                             ; =>This Inner Loop Header: Depth=1
	v_mov_b32_e32 v0, 1
	s_and_saveexec_b64 s[10:11], s[4:5]
	s_cbranch_execz .LBB6_2177
; %bb.2181:                             ;   in Loop: Header=BB6_2180 Depth=1
	global_load_dword v0, v[8:9], off offset:20 glc
	s_waitcnt vmcnt(0)
	buffer_wbinvl1_vol
	v_and_b32_e32 v0, 1, v0
	s_branch .LBB6_2177
.LBB6_2182:
	s_and_saveexec_b64 s[10:11], s[4:5]
	s_cbranch_execz .LBB6_2185
; %bb.2183:
	v_mov_b32_e32 v6, 0
	global_load_dwordx2 v[0:1], v6, s[6:7] offset:40
	global_load_dwordx2 v[9:10], v6, s[6:7] offset:24 glc
	global_load_dwordx2 v[2:3], v6, s[6:7]
	s_waitcnt vmcnt(2)
	v_readfirstlane_b32 s12, v0
	v_readfirstlane_b32 s13, v1
	s_add_u32 s14, s12, 1
	s_addc_u32 s15, s13, 0
	s_add_u32 s4, s14, s8
	s_addc_u32 s5, s15, s9
	s_cmp_eq_u64 s[4:5], 0
	s_cselect_b32 s5, s15, s5
	s_cselect_b32 s4, s14, s4
	s_and_b64 s[8:9], s[4:5], s[12:13]
	s_mul_i32 s9, s9, 24
	s_mul_hi_u32 s12, s8, 24
	s_mul_i32 s8, s8, 24
	s_add_i32 s9, s12, s9
	v_mov_b32_e32 v0, s9
	s_waitcnt vmcnt(0)
	v_add_co_u32_e32 v4, vcc, s8, v2
	v_addc_co_u32_e32 v5, vcc, v3, v0, vcc
	v_mov_b32_e32 v7, s4
	global_store_dwordx2 v[4:5], v[9:10], off
	v_mov_b32_e32 v8, s5
	s_waitcnt vmcnt(0)
	global_atomic_cmpswap_x2 v[2:3], v6, v[7:10], s[6:7] offset:24 glc
	s_mov_b64 s[8:9], 0
	s_waitcnt vmcnt(0)
	v_cmp_ne_u64_e32 vcc, v[2:3], v[9:10]
	s_and_b64 exec, exec, vcc
	s_cbranch_execz .LBB6_2185
.LBB6_2184:                             ; =>This Inner Loop Header: Depth=1
	s_sleep 1
	global_store_dwordx2 v[4:5], v[2:3], off
	v_mov_b32_e32 v0, s4
	v_mov_b32_e32 v1, s5
	s_waitcnt vmcnt(0)
	global_atomic_cmpswap_x2 v[0:1], v6, v[0:3], s[6:7] offset:24 glc
	s_waitcnt vmcnt(0)
	v_cmp_eq_u64_e32 vcc, v[0:1], v[2:3]
	v_mov_b32_e32 v3, v1
	s_or_b64 s[8:9], vcc, s[8:9]
	v_mov_b32_e32 v2, v0
	s_andn2_b64 exec, exec, s[8:9]
	s_cbranch_execnz .LBB6_2184
.LBB6_2185:
	s_or_b64 exec, exec, s[10:11]
.LBB6_2186:
	s_getpc_b64 s[4:5]
	s_add_u32 s4, s4, .str.29@rel32@lo+4
	s_addc_u32 s5, s5, .str.29@rel32@hi+12
	s_getpc_b64 s[6:7]
	s_add_u32 s6, s6, .str.19@rel32@lo+4
	s_addc_u32 s7, s7, .str.19@rel32@hi+12
	s_getpc_b64 s[10:11]
	s_add_u32 s10, s10, __PRETTY_FUNCTION__._ZN7VecsMemIjLi8192EE5fetchEi@rel32@lo+4
	s_addc_u32 s11, s11, __PRETTY_FUNCTION__._ZN7VecsMemIjLi8192EE5fetchEi@rel32@hi+12
	s_getpc_b64 s[12:13]
	s_add_u32 s12, s12, __assert_fail@rel32@lo+4
	s_addc_u32 s13, s13, __assert_fail@rel32@hi+12
	s_mov_b64 s[8:9], s[64:65]
	s_waitcnt vmcnt(2)
	v_mov_b32_e32 v0, s4
	v_mov_b32_e32 v1, s5
	;; [unrolled: 1-line block ×6, first 2 shown]
	s_waitcnt vmcnt(0)
	v_mov_b32_e32 v6, s11
	s_swappc_b64 s[30:31], s[12:13]
	buffer_load_dword v15, off, s[0:3], s33 offset:168 ; 4-byte Folded Reload
	buffer_load_dword v16, off, s[0:3], s33 offset:172 ; 4-byte Folded Reload
	s_or_b64 s[4:5], s[84:85], exec
	v_mov_b32_e32 v4, v41
.LBB6_2187:
	s_or_b64 exec, exec, s[76:77]
	s_andn2_b64 s[6:7], s[84:85], exec
	s_and_b64 s[4:5], s[4:5], exec
	s_or_b64 s[14:15], s[6:7], s[4:5]
	s_orn2_b64 s[8:9], s[26:27], exec
.LBB6_2188:
	s_or_b64 exec, exec, s[74:75]
	s_mov_b64 s[4:5], 0
	s_mov_b64 s[6:7], s[58:59]
                                        ; implicit-def: $vgpr41
	s_and_saveexec_b64 s[10:11], s[8:9]
	s_cbranch_execz .LBB6_2413
; %bb.2189:
	v_writelane_b32 v62, s10, 0
	v_writelane_b32 v62, s11, 1
	s_mov_b32 s10, 0
	v_cmp_lt_i32_e32 vcc, 0, v55
	s_mov_b64 s[6:7], -1
	buffer_store_dword v57, off, s[0:3], s33 offset:116
	buffer_store_dword v56, off, s[0:3], s33 offset:112
	s_and_saveexec_b64 s[4:5], vcc
	s_cbranch_execz .LBB6_2197
; %bb.2190:
	v_not_b32_e32 v5, v4
	v_mov_b32_e32 v0, 0
	s_mov_b64 s[6:7], 0
	v_mov_b32_e32 v6, 0
	s_branch .LBB6_2192
.LBB6_2191:                             ;   in Loop: Header=BB6_2192 Depth=1
	s_or_b64 exec, exec, s[8:9]
	v_ashrrev_i32_e32 v1, 31, v0
	v_lshlrev_b64 v[0:1], 2, v[0:1]
	s_add_i32 s10, s10, 1
	v_add_co_u32_e32 v0, vcc, v2, v0
	v_addc_co_u32_e32 v1, vcc, v3, v1, vcc
	flat_store_dword v[0:1], v8
	flat_load_dword v0, v[53:54] offset:4
	v_add_co_u32_e32 v58, vcc, 4, v58
	v_addc_co_u32_e32 v59, vcc, 0, v59, vcc
	s_waitcnt vmcnt(0) lgkmcnt(0)
	v_cmp_ge_i32_e32 vcc, s10, v0
	s_or_b64 s[6:7], vcc, s[6:7]
	v_mov_b32_e32 v0, v7
	s_andn2_b64 exec, exec, s[6:7]
	s_cbranch_execz .LBB6_2196
.LBB6_2192:                             ; =>This Inner Loop Header: Depth=1
	flat_load_dword v8, v[58:59]
                                        ; implicit-def: $vgpr7
	s_waitcnt vmcnt(0) lgkmcnt(0)
	v_and_b32_e32 v1, v8, v4
	v_cmp_ne_u32_e32 vcc, 0, v1
	s_and_saveexec_b64 s[8:9], vcc
	s_xor_b64 s[8:9], exec, s[8:9]
	s_cbranch_execz .LBB6_2194
; %bb.2193:                             ;   in Loop: Header=BB6_2192 Depth=1
	v_and_b32_e32 v8, v8, v5
	v_add_u32_e32 v7, 1, v0
	buffer_store_dword v7, off, s[0:3], s33 offset:92
.LBB6_2194:                             ;   in Loop: Header=BB6_2192 Depth=1
	s_or_saveexec_b64 s[8:9], s[8:9]
	v_mov_b32_e32 v2, v60
	v_mov_b32_e32 v9, v6
	;; [unrolled: 1-line block ×3, first 2 shown]
	s_xor_b64 exec, exec, s[8:9]
	s_cbranch_execz .LBB6_2191
; %bb.2195:                             ;   in Loop: Header=BB6_2192 Depth=1
	v_add_u32_e32 v9, 1, v6
	v_mov_b32_e32 v2, v56
	v_mov_b32_e32 v7, v0
	;; [unrolled: 1-line block ×5, first 2 shown]
	buffer_store_dword v9, off, s[0:3], s33 offset:108
	s_branch .LBB6_2191
.LBB6_2196:
	s_or_b64 exec, exec, s[6:7]
	v_cmp_eq_u32_e32 vcc, 0, v9
	s_orn2_b64 s[6:7], vcc, exec
.LBB6_2197:
	v_writelane_b32 v62, s14, 2
	v_writelane_b32 v62, s15, 3
	;; [unrolled: 1-line block ×26, first 2 shown]
	s_or_b64 exec, exec, s[4:5]
	s_waitcnt vmcnt(0)
	flat_load_dword v0, v[15:16] offset:4
	s_xor_b64 s[86:87], s[6:7], -1
	s_getpc_b64 s[4:5]
	s_add_u32 s4, s4, _ZN3sop23sopFactorTrivialCubeRecEjiiPN8subgUtil4SubgILi256EEE@rel32@lo+4
	s_addc_u32 s5, s5, _ZN3sop23sopFactorTrivialCubeRecEjiiPN8subgUtil4SubgILi256EEE@rel32@hi+12
	s_mov_b64 s[8:9], s[64:65]
	v_mov_b32_e32 v1, 0
	v_mov_b32_e32 v2, v47
	;; [unrolled: 1-line block ×4, first 2 shown]
	s_mov_b64 s[96:97], src_private_base
	s_swappc_b64 s[30:31], s[4:5]
	buffer_store_dword v0, off, s[0:3], s33 offset:168 ; 4-byte Folded Spill
	v_lshrrev_b32_e64 v0, 6, s33
	s_getpc_b64 s[4:5]
	s_add_u32 s4, s4, _ZN3sop12sopFactorRecEPNS_3SopEiP7VecsMemIjLi8192EEPN8subgUtil4SubgILi256EEE@rel32@lo+4
	s_addc_u32 s5, s5, _ZN3sop12sopFactorRecEPNS_3SopEiP7VecsMemIjLi8192EEPN8subgUtil4SubgILi256EEE@rel32@hi+12
	s_mov_b64 s[8:9], s[64:65]
	v_add_u32_e32 v0, 0x58, v0
	v_mov_b32_e32 v1, s97
	v_mov_b32_e32 v2, v47
	;; [unrolled: 1-line block ×6, first 2 shown]
	s_swappc_b64 s[30:31], s[4:5]
	flat_load_dword v1, v[42:43]
	v_readlane_b32 s52, v62, 2
	s_movk_i32 s4, 0xff
	v_readlane_b32 s53, v62, 3
	s_mov_b64 s[34:35], s[52:53]
	s_waitcnt vmcnt(0) lgkmcnt(0)
	v_cmp_lt_i32_e32 vcc, s4, v1
	s_and_saveexec_b64 s[4:5], vcc
	s_xor_b64 s[26:27], exec, s[4:5]
	s_cbranch_execz .LBB6_2199
; %bb.2198:
	s_getpc_b64 s[4:5]
	s_add_u32 s4, s4, .str.43@rel32@lo+4
	s_addc_u32 s5, s5, .str.43@rel32@hi+12
	s_getpc_b64 s[6:7]
	s_add_u32 s6, s6, .str.44@rel32@lo+4
	s_addc_u32 s7, s7, .str.44@rel32@hi+12
	s_getpc_b64 s[10:11]
	s_add_u32 s10, s10, __PRETTY_FUNCTION__._ZN8subgUtil4SubgILi256EE10addNodeAndEii@rel32@lo+4
	s_addc_u32 s11, s11, __PRETTY_FUNCTION__._ZN8subgUtil4SubgILi256EE10addNodeAndEii@rel32@hi+12
	s_getpc_b64 s[12:13]
	s_add_u32 s12, s12, __assert_fail@rel32@lo+4
	s_addc_u32 s13, s13, __assert_fail@rel32@hi+12
	s_mov_b64 s[8:9], s[64:65]
	v_mov_b32_e32 v0, s4
	v_mov_b32_e32 v1, s5
	;; [unrolled: 1-line block ×7, first 2 shown]
	s_swappc_b64 s[30:31], s[12:13]
	s_or_b64 s[34:35], s[52:53], exec
                                        ; implicit-def: $vgpr0
                                        ; implicit-def: $vgpr1
                                        ; kill: killed $vgpr0
                                        ; implicit-def: $vgpr0
                                        ; implicit-def: $vgpr42_vgpr43
                                        ; implicit-def: $vgpr44
                                        ; implicit-def: $vgpr47
.LBB6_2199:
	s_or_saveexec_b64 s[36:37], s[26:27]
	v_readlane_b32 s58, v62, 8
	v_readlane_b32 s59, v62, 9
	;; [unrolled: 1-line block ×13, first 2 shown]
	s_mov_b64 s[4:5], 0
	s_mov_b64 s[6:7], s[58:59]
	v_readlane_b32 s43, v62, 27
	v_readlane_b32 s45, v62, 25
	;; [unrolled: 1-line block ×11, first 2 shown]
                                        ; implicit-def: $vgpr41
	s_xor_b64 exec, exec, s[36:37]
	s_cbranch_execz .LBB6_2412
; %bb.2200:
	buffer_load_dword v2, off, s[0:3], s33 offset:168 ; 4-byte Folded Reload
	s_mov_b64 s[4:5], -1
	s_mov_b64 s[6:7], s[58:59]
	s_mov_b64 s[8:9], s[34:35]
                                        ; implicit-def: $vgpr41
	s_waitcnt vmcnt(0)
	v_or_b32_e32 v3, v0, v2
	v_cmp_lt_i32_e32 vcc, -1, v3
	s_and_saveexec_b64 s[38:39], vcc
	s_cbranch_execz .LBB6_2411
; %bb.2201:
	v_min_i32_e32 v4, v2, v0
	v_max_i32_e32 v0, v2, v0
	v_ashrrev_i32_e32 v2, 31, v1
	v_lshlrev_b64 v[5:6], 3, v[1:2]
	v_lshlrev_b32_e32 v3, 1, v0
	v_add_co_u32_e32 v5, vcc, v42, v5
	v_add_u32_e32 v0, 1, v1
	v_addc_co_u32_e32 v6, vcc, v43, v6, vcc
	v_lshlrev_b32_e32 v41, 1, v1
	s_mov_b64 s[6:7], -1
	s_mov_b64 s[4:5], s[34:35]
	flat_store_dword v[42:43], v0
	flat_store_dwordx2 v[5:6], v[3:4] offset:8
	s_and_saveexec_b64 s[48:49], s[86:87]
	s_cbranch_execz .LBB6_2408
; %bb.2202:
	s_mov_b64 s[4:5], src_private_base
	v_lshrrev_b32_e64 v0, 6, s33
	s_getpc_b64 s[6:7]
	s_add_u32 s6, s6, _ZN3sop12sopFactorRecEPNS_3SopEiP7VecsMemIjLi8192EEPN8subgUtil4SubgILi256EEE@rel32@lo+4
	s_addc_u32 s7, s7, _ZN3sop12sopFactorRecEPNS_3SopEiP7VecsMemIjLi8192EEPN8subgUtil4SubgILi256EEE@rel32@hi+12
	s_mov_b64 s[8:9], s[64:65]
	v_add_u32_e32 v0, 0x68, v0
	v_mov_b32_e32 v1, s5
	v_mov_b32_e32 v2, v47
	;; [unrolled: 1-line block ×6, first 2 shown]
	s_swappc_b64 s[30:31], s[6:7]
	flat_load_dword v1, v[42:43]
	s_movk_i32 s4, 0xff
	s_mov_b64 s[26:27], s[34:35]
	s_waitcnt vmcnt(0) lgkmcnt(0)
	v_cmp_lt_i32_e32 vcc, s4, v1
	s_and_saveexec_b64 s[4:5], vcc
	s_xor_b64 s[28:29], exec, s[4:5]
	s_cbranch_execz .LBB6_2204
; %bb.2203:
	s_getpc_b64 s[4:5]
	s_add_u32 s4, s4, .str.43@rel32@lo+4
	s_addc_u32 s5, s5, .str.43@rel32@hi+12
	s_getpc_b64 s[6:7]
	s_add_u32 s6, s6, .str.44@rel32@lo+4
	s_addc_u32 s7, s7, .str.44@rel32@hi+12
	s_getpc_b64 s[10:11]
	s_add_u32 s10, s10, __PRETTY_FUNCTION__._ZN8subgUtil4SubgILi256EE9addNodeOrEii@rel32@lo+4
	s_addc_u32 s11, s11, __PRETTY_FUNCTION__._ZN8subgUtil4SubgILi256EE9addNodeOrEii@rel32@hi+12
	s_getpc_b64 s[12:13]
	s_add_u32 s12, s12, __assert_fail@rel32@lo+4
	s_addc_u32 s13, s13, __assert_fail@rel32@hi+12
	s_mov_b64 s[8:9], s[64:65]
	v_mov_b32_e32 v0, s4
	v_mov_b32_e32 v1, s5
	;; [unrolled: 1-line block ×7, first 2 shown]
	s_swappc_b64 s[30:31], s[12:13]
	s_or_b64 s[26:27], s[34:35], exec
                                        ; implicit-def: $vgpr0
                                        ; implicit-def: $vgpr41
                                        ; implicit-def: $vgpr42_vgpr43
.LBB6_2204:
	s_or_saveexec_b64 s[28:29], s[28:29]
	s_mov_b64 s[6:7], 0
	s_xor_b64 exec, exec, s[28:29]
	s_cbranch_execz .LBB6_2407
; %bb.2205:
	v_max_i32_e32 v3, v41, v0
	v_min_i32_e32 v36, v41, v0
	v_xor_b32_e32 v30, 1, v36
	v_xor_b32_e32 v33, 1, v3
	v_cmp_gt_i32_e64 s[4:5], v30, v33
	s_and_saveexec_b64 s[8:9], s[4:5]
	s_cbranch_execz .LBB6_2402
; %bb.2206:
	s_load_dwordx2 s[10:11], s[64:65], 0x50
	v_mbcnt_lo_u32_b32 v1, -1, 0
	v_mbcnt_hi_u32_b32 v35, -1, v1
	v_readfirstlane_b32 s6, v35
	v_mov_b32_e32 v1, 0
	v_mov_b32_e32 v2, 0
	v_cmp_eq_u32_e64 s[6:7], s6, v35
	s_and_saveexec_b64 s[12:13], s[6:7]
	s_cbranch_execz .LBB6_2212
; %bb.2207:
	v_mov_b32_e32 v4, 0
	s_waitcnt lgkmcnt(0)
	global_load_dwordx2 v[7:8], v4, s[10:11] offset:24 glc
	s_waitcnt vmcnt(0)
	buffer_wbinvl1_vol
	global_load_dwordx2 v[1:2], v4, s[10:11] offset:40
	global_load_dwordx2 v[5:6], v4, s[10:11]
	s_waitcnt vmcnt(1)
	v_and_b32_e32 v1, v1, v7
	v_and_b32_e32 v2, v2, v8
	v_mul_lo_u32 v2, v2, 24
	v_mul_hi_u32 v9, v1, 24
	v_mul_lo_u32 v1, v1, 24
	v_add_u32_e32 v2, v9, v2
	s_waitcnt vmcnt(0)
	v_add_co_u32_e32 v1, vcc, v5, v1
	v_addc_co_u32_e32 v2, vcc, v6, v2, vcc
	global_load_dwordx2 v[5:6], v[1:2], off glc
	s_waitcnt vmcnt(0)
	global_atomic_cmpswap_x2 v[1:2], v4, v[5:8], s[10:11] offset:24 glc
	s_waitcnt vmcnt(0)
	buffer_wbinvl1_vol
	v_cmp_ne_u64_e32 vcc, v[1:2], v[7:8]
	s_and_saveexec_b64 s[14:15], vcc
	s_cbranch_execz .LBB6_2211
; %bb.2208:
	s_mov_b64 s[16:17], 0
.LBB6_2209:                             ; =>This Inner Loop Header: Depth=1
	s_sleep 1
	global_load_dwordx2 v[5:6], v4, s[10:11] offset:40
	global_load_dwordx2 v[9:10], v4, s[10:11]
	v_mov_b32_e32 v8, v2
	v_mov_b32_e32 v7, v1
	s_waitcnt vmcnt(1)
	v_and_b32_e32 v1, v5, v7
	s_waitcnt vmcnt(0)
	v_mad_u64_u32 v[1:2], s[18:19], v1, 24, v[9:10]
	v_and_b32_e32 v5, v6, v8
	v_mad_u64_u32 v[5:6], s[18:19], v5, 24, v[2:3]
	v_mov_b32_e32 v2, v5
	global_load_dwordx2 v[5:6], v[1:2], off glc
	s_waitcnt vmcnt(0)
	global_atomic_cmpswap_x2 v[1:2], v4, v[5:8], s[10:11] offset:24 glc
	s_waitcnt vmcnt(0)
	buffer_wbinvl1_vol
	v_cmp_eq_u64_e32 vcc, v[1:2], v[7:8]
	s_or_b64 s[16:17], vcc, s[16:17]
	s_andn2_b64 exec, exec, s[16:17]
	s_cbranch_execnz .LBB6_2209
; %bb.2210:
	s_or_b64 exec, exec, s[16:17]
.LBB6_2211:
	s_or_b64 exec, exec, s[14:15]
.LBB6_2212:
	s_or_b64 exec, exec, s[12:13]
	v_mov_b32_e32 v8, 0
	s_waitcnt lgkmcnt(0)
	global_load_dwordx2 v[9:10], v8, s[10:11] offset:40
	global_load_dwordx4 v[4:7], v8, s[10:11]
	v_readfirstlane_b32 s13, v2
	v_readfirstlane_b32 s12, v1
	s_mov_b64 s[14:15], exec
	s_waitcnt vmcnt(1)
	v_readfirstlane_b32 s16, v9
	v_readfirstlane_b32 s17, v10
	s_and_b64 s[16:17], s[16:17], s[12:13]
	s_mul_i32 s18, s17, 24
	s_mul_hi_u32 s19, s16, 24
	s_mul_i32 s20, s16, 24
	s_add_i32 s18, s19, s18
	v_mov_b32_e32 v2, s18
	s_waitcnt vmcnt(0)
	v_add_co_u32_e32 v1, vcc, s20, v4
	v_addc_co_u32_e32 v2, vcc, v5, v2, vcc
	s_and_saveexec_b64 s[18:19], s[6:7]
	s_cbranch_execz .LBB6_2214
; %bb.2213:
	v_mov_b32_e32 v9, s14
	v_mov_b32_e32 v10, s15
	;; [unrolled: 1-line block ×4, first 2 shown]
	global_store_dwordx4 v[1:2], v[9:12], off offset:8
.LBB6_2214:
	s_or_b64 exec, exec, s[18:19]
	s_lshl_b64 s[14:15], s[16:17], 12
	v_mov_b32_e32 v9, s15
	v_add_co_u32_e32 v6, vcc, s14, v6
	v_addc_co_u32_e32 v13, vcc, v7, v9, vcc
	v_lshlrev_b32_e32 v34, 6, v35
	s_mov_b32 s16, 0
	v_mov_b32_e32 v7, 33
	v_mov_b32_e32 v9, v8
	;; [unrolled: 1-line block ×3, first 2 shown]
	v_readfirstlane_b32 s14, v6
	v_readfirstlane_b32 s15, v13
	v_add_co_u32_e32 v11, vcc, v6, v34
	s_mov_b32 s17, s16
	s_mov_b32 s18, s16
	;; [unrolled: 1-line block ×3, first 2 shown]
	s_nop 0
	global_store_dwordx4 v34, v[7:10], s[14:15]
	v_mov_b32_e32 v6, s16
	v_addc_co_u32_e32 v12, vcc, 0, v13, vcc
	v_mov_b32_e32 v7, s17
	v_mov_b32_e32 v8, s18
	v_mov_b32_e32 v9, s19
	global_store_dwordx4 v34, v[6:9], s[14:15] offset:16
	global_store_dwordx4 v34, v[6:9], s[14:15] offset:32
	;; [unrolled: 1-line block ×3, first 2 shown]
	s_and_saveexec_b64 s[14:15], s[6:7]
	s_cbranch_execz .LBB6_2222
; %bb.2215:
	v_mov_b32_e32 v10, 0
	global_load_dwordx2 v[15:16], v10, s[10:11] offset:32 glc
	global_load_dwordx2 v[6:7], v10, s[10:11] offset:40
	v_mov_b32_e32 v13, s12
	v_mov_b32_e32 v14, s13
	s_waitcnt vmcnt(0)
	v_and_b32_e32 v6, s12, v6
	v_and_b32_e32 v7, s13, v7
	v_mul_lo_u32 v7, v7, 24
	v_mul_hi_u32 v8, v6, 24
	v_mul_lo_u32 v6, v6, 24
	v_add_u32_e32 v7, v8, v7
	v_add_co_u32_e32 v8, vcc, v4, v6
	v_addc_co_u32_e32 v9, vcc, v5, v7, vcc
	global_store_dwordx2 v[8:9], v[15:16], off
	s_waitcnt vmcnt(0)
	global_atomic_cmpswap_x2 v[6:7], v10, v[13:16], s[10:11] offset:32 glc
	s_waitcnt vmcnt(0)
	v_cmp_ne_u64_e32 vcc, v[6:7], v[15:16]
	s_and_saveexec_b64 s[16:17], vcc
	s_cbranch_execz .LBB6_2218
; %bb.2216:
	s_mov_b64 s[18:19], 0
.LBB6_2217:                             ; =>This Inner Loop Header: Depth=1
	s_sleep 1
	global_store_dwordx2 v[8:9], v[6:7], off
	v_mov_b32_e32 v4, s12
	v_mov_b32_e32 v5, s13
	s_waitcnt vmcnt(0)
	global_atomic_cmpswap_x2 v[4:5], v10, v[4:7], s[10:11] offset:32 glc
	s_waitcnt vmcnt(0)
	v_cmp_eq_u64_e32 vcc, v[4:5], v[6:7]
	v_mov_b32_e32 v7, v5
	s_or_b64 s[18:19], vcc, s[18:19]
	v_mov_b32_e32 v6, v4
	s_andn2_b64 exec, exec, s[18:19]
	s_cbranch_execnz .LBB6_2217
.LBB6_2218:
	s_or_b64 exec, exec, s[16:17]
	v_mov_b32_e32 v7, 0
	global_load_dwordx2 v[4:5], v7, s[10:11] offset:16
	s_mov_b64 s[16:17], exec
	v_mbcnt_lo_u32_b32 v6, s16, 0
	v_mbcnt_hi_u32_b32 v6, s17, v6
	v_cmp_eq_u32_e32 vcc, 0, v6
	s_and_saveexec_b64 s[18:19], vcc
	s_cbranch_execz .LBB6_2220
; %bb.2219:
	s_bcnt1_i32_b64 s16, s[16:17]
	v_mov_b32_e32 v6, s16
	s_waitcnt vmcnt(0)
	global_atomic_add_x2 v[4:5], v[6:7], off offset:8
.LBB6_2220:
	s_or_b64 exec, exec, s[18:19]
	s_waitcnt vmcnt(0)
	global_load_dwordx2 v[6:7], v[4:5], off offset:16
	s_waitcnt vmcnt(0)
	v_cmp_eq_u64_e32 vcc, 0, v[6:7]
	s_cbranch_vccnz .LBB6_2222
; %bb.2221:
	global_load_dword v4, v[4:5], off offset:24
	v_mov_b32_e32 v5, 0
	s_waitcnt vmcnt(0)
	v_readfirstlane_b32 s16, v4
	s_and_b32 m0, s16, 0xffffff
	global_store_dwordx2 v[6:7], v[4:5], off
	s_sendmsg sendmsg(MSG_INTERRUPT)
.LBB6_2222:
	s_or_b64 exec, exec, s[14:15]
	s_branch .LBB6_2226
.LBB6_2223:                             ;   in Loop: Header=BB6_2226 Depth=1
	s_or_b64 exec, exec, s[14:15]
	v_readfirstlane_b32 s14, v4
	s_cmp_eq_u32 s14, 0
	s_cbranch_scc1 .LBB6_2225
; %bb.2224:                             ;   in Loop: Header=BB6_2226 Depth=1
	s_sleep 1
	s_cbranch_execnz .LBB6_2226
	s_branch .LBB6_2228
.LBB6_2225:
	s_branch .LBB6_2228
.LBB6_2226:                             ; =>This Inner Loop Header: Depth=1
	v_mov_b32_e32 v4, 1
	s_and_saveexec_b64 s[14:15], s[6:7]
	s_cbranch_execz .LBB6_2223
; %bb.2227:                             ;   in Loop: Header=BB6_2226 Depth=1
	global_load_dword v4, v[1:2], off offset:20 glc
	s_waitcnt vmcnt(0)
	buffer_wbinvl1_vol
	v_and_b32_e32 v4, 1, v4
	s_branch .LBB6_2223
.LBB6_2228:
	global_load_dwordx2 v[4:5], v[11:12], off
	s_and_saveexec_b64 s[14:15], s[6:7]
	s_cbranch_execz .LBB6_2231
; %bb.2229:
	v_mov_b32_e32 v10, 0
	global_load_dwordx2 v[1:2], v10, s[10:11] offset:40
	global_load_dwordx2 v[13:14], v10, s[10:11] offset:24 glc
	global_load_dwordx2 v[6:7], v10, s[10:11]
	s_waitcnt vmcnt(2)
	v_readfirstlane_b32 s16, v1
	v_readfirstlane_b32 s17, v2
	s_add_u32 s18, s16, 1
	s_addc_u32 s19, s17, 0
	s_add_u32 s6, s18, s12
	s_addc_u32 s7, s19, s13
	s_cmp_eq_u64 s[6:7], 0
	s_cselect_b32 s7, s19, s7
	s_cselect_b32 s6, s18, s6
	s_and_b64 s[12:13], s[6:7], s[16:17]
	s_mul_i32 s13, s13, 24
	s_mul_hi_u32 s16, s12, 24
	s_mul_i32 s12, s12, 24
	s_add_i32 s13, s16, s13
	v_mov_b32_e32 v2, s13
	s_waitcnt vmcnt(0)
	v_add_co_u32_e32 v1, vcc, s12, v6
	v_addc_co_u32_e32 v2, vcc, v7, v2, vcc
	v_mov_b32_e32 v11, s6
	global_store_dwordx2 v[1:2], v[13:14], off
	v_mov_b32_e32 v12, s7
	s_waitcnt vmcnt(0)
	global_atomic_cmpswap_x2 v[8:9], v10, v[11:14], s[10:11] offset:24 glc
	s_mov_b64 s[12:13], 0
	s_waitcnt vmcnt(0)
	v_cmp_ne_u64_e32 vcc, v[8:9], v[13:14]
	s_and_b64 exec, exec, vcc
	s_cbranch_execz .LBB6_2231
.LBB6_2230:                             ; =>This Inner Loop Header: Depth=1
	s_sleep 1
	global_store_dwordx2 v[1:2], v[8:9], off
	v_mov_b32_e32 v6, s6
	v_mov_b32_e32 v7, s7
	s_waitcnt vmcnt(0)
	global_atomic_cmpswap_x2 v[6:7], v10, v[6:9], s[10:11] offset:24 glc
	s_waitcnt vmcnt(0)
	v_cmp_eq_u64_e32 vcc, v[6:7], v[8:9]
	v_mov_b32_e32 v9, v7
	s_or_b64 s[12:13], vcc, s[12:13]
	v_mov_b32_e32 v8, v6
	s_andn2_b64 exec, exec, s[12:13]
	s_cbranch_execnz .LBB6_2230
.LBB6_2231:
	s_or_b64 exec, exec, s[14:15]
	s_getpc_b64 s[12:13]
	s_add_u32 s12, s12, .str.45@rel32@lo+4
	s_addc_u32 s13, s13, .str.45@rel32@hi+12
	s_cmp_lg_u64 s[12:13], 0
	s_cbranch_scc0 .LBB6_2324
; %bb.2232:
	s_waitcnt vmcnt(0)
	v_and_b32_e32 v37, 2, v4
	v_mov_b32_e32 v2, 0
	v_and_b32_e32 v6, -3, v4
	v_mov_b32_e32 v7, v5
	s_mov_b64 s[14:15], 7
	v_mov_b32_e32 v12, 2
	v_mov_b32_e32 v13, 1
	s_branch .LBB6_2234
.LBB6_2233:                             ;   in Loop: Header=BB6_2234 Depth=1
	s_or_b64 exec, exec, s[20:21]
	s_sub_u32 s14, s14, s16
	s_subb_u32 s15, s15, s17
	s_add_u32 s12, s12, s16
	s_addc_u32 s13, s13, s17
	s_cmp_lg_u64 s[14:15], 0
	s_cbranch_scc0 .LBB6_2323
.LBB6_2234:                             ; =>This Loop Header: Depth=1
                                        ;     Child Loop BB6_2237 Depth 2
                                        ;     Child Loop BB6_2246 Depth 2
	;; [unrolled: 1-line block ×11, first 2 shown]
	v_cmp_lt_u64_e64 s[6:7], s[14:15], 56
	v_cmp_gt_u64_e64 s[18:19], s[14:15], 7
	s_and_b64 s[6:7], s[6:7], exec
	s_cselect_b32 s17, s15, 0
	s_cselect_b32 s16, s14, 56
	s_add_u32 s6, s12, 8
	s_addc_u32 s7, s13, 0
	s_and_b64 vcc, exec, s[18:19]
	s_cbranch_vccnz .LBB6_2238
; %bb.2235:                             ;   in Loop: Header=BB6_2234 Depth=1
	s_cmp_eq_u64 s[14:15], 0
	s_cbranch_scc1 .LBB6_2239
; %bb.2236:                             ;   in Loop: Header=BB6_2234 Depth=1
	v_mov_b32_e32 v8, 0
	s_lshl_b64 s[6:7], s[16:17], 3
	s_mov_b64 s[18:19], 0
	v_mov_b32_e32 v9, 0
	s_mov_b64 s[20:21], s[12:13]
.LBB6_2237:                             ;   Parent Loop BB6_2234 Depth=1
                                        ; =>  This Inner Loop Header: Depth=2
	global_load_ubyte v1, v2, s[20:21]
	s_waitcnt vmcnt(0)
	v_and_b32_e32 v1, 0xffff, v1
	v_lshlrev_b64 v[10:11], s18, v[1:2]
	s_add_u32 s18, s18, 8
	s_addc_u32 s19, s19, 0
	s_add_u32 s20, s20, 1
	s_addc_u32 s21, s21, 0
	v_or_b32_e32 v8, v10, v8
	s_cmp_lg_u32 s6, s18
	v_or_b32_e32 v9, v11, v9
	s_cbranch_scc1 .LBB6_2237
	s_branch .LBB6_2240
.LBB6_2238:                             ;   in Loop: Header=BB6_2234 Depth=1
	s_mov_b64 s[18:19], -1
	s_branch .LBB6_2241
.LBB6_2239:                             ;   in Loop: Header=BB6_2234 Depth=1
	v_mov_b32_e32 v8, 0
	v_mov_b32_e32 v9, 0
.LBB6_2240:                             ;   in Loop: Header=BB6_2234 Depth=1
	s_mov_b64 s[18:19], 0
	s_mov_b64 s[6:7], s[12:13]
.LBB6_2241:                             ;   in Loop: Header=BB6_2234 Depth=1
	s_andn2_b64 vcc, exec, s[18:19]
	s_mov_b32 s22, 0
	s_cbranch_vccnz .LBB6_2243
; %bb.2242:                             ;   in Loop: Header=BB6_2234 Depth=1
	global_load_dwordx2 v[8:9], v2, s[12:13]
	s_add_i32 s22, s16, -8
.LBB6_2243:                             ;   in Loop: Header=BB6_2234 Depth=1
	s_add_u32 s18, s6, 8
	s_addc_u32 s19, s7, 0
	s_cmp_gt_u32 s22, 7
	s_cbranch_scc1 .LBB6_2247
; %bb.2244:                             ;   in Loop: Header=BB6_2234 Depth=1
	s_cmp_eq_u32 s22, 0
	s_cbranch_scc1 .LBB6_2248
; %bb.2245:                             ;   in Loop: Header=BB6_2234 Depth=1
	v_mov_b32_e32 v14, 0
	s_mov_b64 s[18:19], 0
	v_mov_b32_e32 v15, 0
	s_mov_b64 s[20:21], 0
.LBB6_2246:                             ;   Parent Loop BB6_2234 Depth=1
                                        ; =>  This Inner Loop Header: Depth=2
	s_add_u32 s24, s6, s20
	s_addc_u32 s25, s7, s21
	global_load_ubyte v1, v2, s[24:25]
	s_add_u32 s20, s20, 1
	s_addc_u32 s21, s21, 0
	s_waitcnt vmcnt(0)
	v_and_b32_e32 v1, 0xffff, v1
	v_lshlrev_b64 v[10:11], s18, v[1:2]
	s_add_u32 s18, s18, 8
	s_addc_u32 s19, s19, 0
	v_or_b32_e32 v14, v10, v14
	s_cmp_lg_u32 s22, s20
	v_or_b32_e32 v15, v11, v15
	s_cbranch_scc1 .LBB6_2246
	s_branch .LBB6_2249
.LBB6_2247:                             ;   in Loop: Header=BB6_2234 Depth=1
	s_mov_b64 s[20:21], -1
                                        ; implicit-def: $vgpr14_vgpr15
	s_branch .LBB6_2250
.LBB6_2248:                             ;   in Loop: Header=BB6_2234 Depth=1
	v_mov_b32_e32 v14, 0
	v_mov_b32_e32 v15, 0
.LBB6_2249:                             ;   in Loop: Header=BB6_2234 Depth=1
	s_mov_b64 s[20:21], 0
	s_mov_b64 s[18:19], s[6:7]
.LBB6_2250:                             ;   in Loop: Header=BB6_2234 Depth=1
	s_andn2_b64 vcc, exec, s[20:21]
	s_mov_b32 s23, 0
	s_cbranch_vccnz .LBB6_2252
; %bb.2251:                             ;   in Loop: Header=BB6_2234 Depth=1
	global_load_dwordx2 v[14:15], v2, s[6:7]
	s_add_i32 s23, s22, -8
.LBB6_2252:                             ;   in Loop: Header=BB6_2234 Depth=1
	s_add_u32 s6, s18, 8
	s_addc_u32 s7, s19, 0
	s_cmp_gt_u32 s23, 7
	s_cbranch_scc1 .LBB6_2256
; %bb.2253:                             ;   in Loop: Header=BB6_2234 Depth=1
	s_cmp_eq_u32 s23, 0
	s_cbranch_scc1 .LBB6_2257
; %bb.2254:                             ;   in Loop: Header=BB6_2234 Depth=1
	v_mov_b32_e32 v16, 0
	s_mov_b64 s[6:7], 0
	v_mov_b32_e32 v17, 0
	s_mov_b64 s[20:21], 0
.LBB6_2255:                             ;   Parent Loop BB6_2234 Depth=1
                                        ; =>  This Inner Loop Header: Depth=2
	s_add_u32 s24, s18, s20
	s_addc_u32 s25, s19, s21
	global_load_ubyte v1, v2, s[24:25]
	s_add_u32 s20, s20, 1
	s_addc_u32 s21, s21, 0
	s_waitcnt vmcnt(0)
	v_and_b32_e32 v1, 0xffff, v1
	v_lshlrev_b64 v[10:11], s6, v[1:2]
	s_add_u32 s6, s6, 8
	s_addc_u32 s7, s7, 0
	v_or_b32_e32 v16, v10, v16
	s_cmp_lg_u32 s23, s20
	v_or_b32_e32 v17, v11, v17
	s_cbranch_scc1 .LBB6_2255
	s_branch .LBB6_2258
.LBB6_2256:                             ;   in Loop: Header=BB6_2234 Depth=1
	s_mov_b64 s[20:21], -1
	s_branch .LBB6_2259
.LBB6_2257:                             ;   in Loop: Header=BB6_2234 Depth=1
	v_mov_b32_e32 v16, 0
	v_mov_b32_e32 v17, 0
.LBB6_2258:                             ;   in Loop: Header=BB6_2234 Depth=1
	s_mov_b64 s[20:21], 0
	s_mov_b64 s[6:7], s[18:19]
.LBB6_2259:                             ;   in Loop: Header=BB6_2234 Depth=1
	s_andn2_b64 vcc, exec, s[20:21]
	s_mov_b32 s22, 0
	s_cbranch_vccnz .LBB6_2261
; %bb.2260:                             ;   in Loop: Header=BB6_2234 Depth=1
	global_load_dwordx2 v[16:17], v2, s[18:19]
	s_add_i32 s22, s23, -8
.LBB6_2261:                             ;   in Loop: Header=BB6_2234 Depth=1
	s_add_u32 s18, s6, 8
	s_addc_u32 s19, s7, 0
	s_cmp_gt_u32 s22, 7
	s_cbranch_scc1 .LBB6_2265
; %bb.2262:                             ;   in Loop: Header=BB6_2234 Depth=1
	s_cmp_eq_u32 s22, 0
	s_cbranch_scc1 .LBB6_2266
; %bb.2263:                             ;   in Loop: Header=BB6_2234 Depth=1
	v_mov_b32_e32 v18, 0
	s_mov_b64 s[18:19], 0
	v_mov_b32_e32 v19, 0
	s_mov_b64 s[20:21], 0
.LBB6_2264:                             ;   Parent Loop BB6_2234 Depth=1
                                        ; =>  This Inner Loop Header: Depth=2
	s_add_u32 s24, s6, s20
	s_addc_u32 s25, s7, s21
	global_load_ubyte v1, v2, s[24:25]
	s_add_u32 s20, s20, 1
	s_addc_u32 s21, s21, 0
	s_waitcnt vmcnt(0)
	v_and_b32_e32 v1, 0xffff, v1
	v_lshlrev_b64 v[10:11], s18, v[1:2]
	s_add_u32 s18, s18, 8
	s_addc_u32 s19, s19, 0
	v_or_b32_e32 v18, v10, v18
	s_cmp_lg_u32 s22, s20
	v_or_b32_e32 v19, v11, v19
	s_cbranch_scc1 .LBB6_2264
	s_branch .LBB6_2267
.LBB6_2265:                             ;   in Loop: Header=BB6_2234 Depth=1
	s_mov_b64 s[20:21], -1
                                        ; implicit-def: $vgpr18_vgpr19
	s_branch .LBB6_2268
.LBB6_2266:                             ;   in Loop: Header=BB6_2234 Depth=1
	v_mov_b32_e32 v18, 0
	v_mov_b32_e32 v19, 0
.LBB6_2267:                             ;   in Loop: Header=BB6_2234 Depth=1
	s_mov_b64 s[20:21], 0
	s_mov_b64 s[18:19], s[6:7]
.LBB6_2268:                             ;   in Loop: Header=BB6_2234 Depth=1
	s_andn2_b64 vcc, exec, s[20:21]
	s_mov_b32 s23, 0
	s_cbranch_vccnz .LBB6_2270
; %bb.2269:                             ;   in Loop: Header=BB6_2234 Depth=1
	global_load_dwordx2 v[18:19], v2, s[6:7]
	s_add_i32 s23, s22, -8
.LBB6_2270:                             ;   in Loop: Header=BB6_2234 Depth=1
	s_add_u32 s6, s18, 8
	s_addc_u32 s7, s19, 0
	s_cmp_gt_u32 s23, 7
	s_cbranch_scc1 .LBB6_2274
; %bb.2271:                             ;   in Loop: Header=BB6_2234 Depth=1
	s_cmp_eq_u32 s23, 0
	s_cbranch_scc1 .LBB6_2275
; %bb.2272:                             ;   in Loop: Header=BB6_2234 Depth=1
	v_mov_b32_e32 v20, 0
	s_mov_b64 s[6:7], 0
	v_mov_b32_e32 v21, 0
	s_mov_b64 s[20:21], 0
.LBB6_2273:                             ;   Parent Loop BB6_2234 Depth=1
                                        ; =>  This Inner Loop Header: Depth=2
	s_add_u32 s24, s18, s20
	s_addc_u32 s25, s19, s21
	global_load_ubyte v1, v2, s[24:25]
	s_add_u32 s20, s20, 1
	s_addc_u32 s21, s21, 0
	s_waitcnt vmcnt(0)
	v_and_b32_e32 v1, 0xffff, v1
	v_lshlrev_b64 v[10:11], s6, v[1:2]
	s_add_u32 s6, s6, 8
	s_addc_u32 s7, s7, 0
	v_or_b32_e32 v20, v10, v20
	s_cmp_lg_u32 s23, s20
	v_or_b32_e32 v21, v11, v21
	s_cbranch_scc1 .LBB6_2273
	s_branch .LBB6_2276
.LBB6_2274:                             ;   in Loop: Header=BB6_2234 Depth=1
	s_mov_b64 s[20:21], -1
	s_branch .LBB6_2277
.LBB6_2275:                             ;   in Loop: Header=BB6_2234 Depth=1
	v_mov_b32_e32 v20, 0
	v_mov_b32_e32 v21, 0
.LBB6_2276:                             ;   in Loop: Header=BB6_2234 Depth=1
	s_mov_b64 s[20:21], 0
	s_mov_b64 s[6:7], s[18:19]
.LBB6_2277:                             ;   in Loop: Header=BB6_2234 Depth=1
	s_andn2_b64 vcc, exec, s[20:21]
	s_mov_b32 s22, 0
	s_cbranch_vccnz .LBB6_2279
; %bb.2278:                             ;   in Loop: Header=BB6_2234 Depth=1
	global_load_dwordx2 v[20:21], v2, s[18:19]
	s_add_i32 s22, s23, -8
.LBB6_2279:                             ;   in Loop: Header=BB6_2234 Depth=1
	s_add_u32 s18, s6, 8
	s_addc_u32 s19, s7, 0
	s_cmp_gt_u32 s22, 7
	s_cbranch_scc1 .LBB6_2283
; %bb.2280:                             ;   in Loop: Header=BB6_2234 Depth=1
	s_cmp_eq_u32 s22, 0
	s_cbranch_scc1 .LBB6_2284
; %bb.2281:                             ;   in Loop: Header=BB6_2234 Depth=1
	v_mov_b32_e32 v22, 0
	s_mov_b64 s[18:19], 0
	v_mov_b32_e32 v23, 0
	s_mov_b64 s[20:21], 0
.LBB6_2282:                             ;   Parent Loop BB6_2234 Depth=1
                                        ; =>  This Inner Loop Header: Depth=2
	s_add_u32 s24, s6, s20
	s_addc_u32 s25, s7, s21
	global_load_ubyte v1, v2, s[24:25]
	s_add_u32 s20, s20, 1
	s_addc_u32 s21, s21, 0
	s_waitcnt vmcnt(0)
	v_and_b32_e32 v1, 0xffff, v1
	v_lshlrev_b64 v[10:11], s18, v[1:2]
	s_add_u32 s18, s18, 8
	s_addc_u32 s19, s19, 0
	v_or_b32_e32 v22, v10, v22
	s_cmp_lg_u32 s22, s20
	v_or_b32_e32 v23, v11, v23
	s_cbranch_scc1 .LBB6_2282
	s_branch .LBB6_2285
.LBB6_2283:                             ;   in Loop: Header=BB6_2234 Depth=1
	s_mov_b64 s[20:21], -1
                                        ; implicit-def: $vgpr22_vgpr23
	s_branch .LBB6_2286
.LBB6_2284:                             ;   in Loop: Header=BB6_2234 Depth=1
	v_mov_b32_e32 v22, 0
	v_mov_b32_e32 v23, 0
.LBB6_2285:                             ;   in Loop: Header=BB6_2234 Depth=1
	s_mov_b64 s[20:21], 0
	s_mov_b64 s[18:19], s[6:7]
.LBB6_2286:                             ;   in Loop: Header=BB6_2234 Depth=1
	s_andn2_b64 vcc, exec, s[20:21]
	s_mov_b32 s23, 0
	s_cbranch_vccnz .LBB6_2288
; %bb.2287:                             ;   in Loop: Header=BB6_2234 Depth=1
	global_load_dwordx2 v[22:23], v2, s[6:7]
	s_add_i32 s23, s22, -8
.LBB6_2288:                             ;   in Loop: Header=BB6_2234 Depth=1
	s_cmp_gt_u32 s23, 7
	s_cbranch_scc1 .LBB6_2292
; %bb.2289:                             ;   in Loop: Header=BB6_2234 Depth=1
	s_cmp_eq_u32 s23, 0
	s_cbranch_scc1 .LBB6_2293
; %bb.2290:                             ;   in Loop: Header=BB6_2234 Depth=1
	v_mov_b32_e32 v24, 0
	s_mov_b64 s[6:7], 0
	v_mov_b32_e32 v25, 0
	s_mov_b64 s[20:21], s[18:19]
.LBB6_2291:                             ;   Parent Loop BB6_2234 Depth=1
                                        ; =>  This Inner Loop Header: Depth=2
	global_load_ubyte v1, v2, s[20:21]
	s_add_i32 s23, s23, -1
	s_waitcnt vmcnt(0)
	v_and_b32_e32 v1, 0xffff, v1
	v_lshlrev_b64 v[10:11], s6, v[1:2]
	s_add_u32 s6, s6, 8
	s_addc_u32 s7, s7, 0
	s_add_u32 s20, s20, 1
	s_addc_u32 s21, s21, 0
	v_or_b32_e32 v24, v10, v24
	s_cmp_lg_u32 s23, 0
	v_or_b32_e32 v25, v11, v25
	s_cbranch_scc1 .LBB6_2291
	s_branch .LBB6_2294
.LBB6_2292:                             ;   in Loop: Header=BB6_2234 Depth=1
	s_mov_b64 s[6:7], -1
	s_branch .LBB6_2295
.LBB6_2293:                             ;   in Loop: Header=BB6_2234 Depth=1
	v_mov_b32_e32 v24, 0
	v_mov_b32_e32 v25, 0
.LBB6_2294:                             ;   in Loop: Header=BB6_2234 Depth=1
	s_mov_b64 s[6:7], 0
.LBB6_2295:                             ;   in Loop: Header=BB6_2234 Depth=1
	s_andn2_b64 vcc, exec, s[6:7]
	s_cbranch_vccnz .LBB6_2297
; %bb.2296:                             ;   in Loop: Header=BB6_2234 Depth=1
	global_load_dwordx2 v[24:25], v2, s[18:19]
.LBB6_2297:                             ;   in Loop: Header=BB6_2234 Depth=1
	v_readfirstlane_b32 s6, v35
	v_mov_b32_e32 v10, 0
	v_mov_b32_e32 v11, 0
	v_cmp_eq_u32_e64 s[6:7], s6, v35
	s_and_saveexec_b64 s[18:19], s[6:7]
	s_cbranch_execz .LBB6_2303
; %bb.2298:                             ;   in Loop: Header=BB6_2234 Depth=1
	global_load_dwordx2 v[28:29], v2, s[10:11] offset:24 glc
	s_waitcnt vmcnt(0)
	buffer_wbinvl1_vol
	global_load_dwordx2 v[10:11], v2, s[10:11] offset:40
	global_load_dwordx2 v[26:27], v2, s[10:11]
	s_waitcnt vmcnt(1)
	v_and_b32_e32 v1, v10, v28
	v_and_b32_e32 v10, v11, v29
	v_mul_lo_u32 v10, v10, 24
	v_mul_hi_u32 v11, v1, 24
	v_mul_lo_u32 v1, v1, 24
	v_add_u32_e32 v11, v11, v10
	s_waitcnt vmcnt(0)
	v_add_co_u32_e32 v10, vcc, v26, v1
	v_addc_co_u32_e32 v11, vcc, v27, v11, vcc
	global_load_dwordx2 v[26:27], v[10:11], off glc
	s_waitcnt vmcnt(0)
	global_atomic_cmpswap_x2 v[10:11], v2, v[26:29], s[10:11] offset:24 glc
	s_waitcnt vmcnt(0)
	buffer_wbinvl1_vol
	v_cmp_ne_u64_e32 vcc, v[10:11], v[28:29]
	s_and_saveexec_b64 s[20:21], vcc
	s_cbranch_execz .LBB6_2302
; %bb.2299:                             ;   in Loop: Header=BB6_2234 Depth=1
	s_mov_b64 s[22:23], 0
.LBB6_2300:                             ;   Parent Loop BB6_2234 Depth=1
                                        ; =>  This Inner Loop Header: Depth=2
	s_sleep 1
	global_load_dwordx2 v[26:27], v2, s[10:11] offset:40
	global_load_dwordx2 v[31:32], v2, s[10:11]
	v_mov_b32_e32 v29, v11
	v_mov_b32_e32 v28, v10
	s_waitcnt vmcnt(1)
	v_and_b32_e32 v1, v26, v28
	s_waitcnt vmcnt(0)
	v_mad_u64_u32 v[10:11], s[24:25], v1, 24, v[31:32]
	v_and_b32_e32 v26, v27, v29
	v_mov_b32_e32 v1, v11
	v_mad_u64_u32 v[26:27], s[24:25], v26, 24, v[1:2]
	v_mov_b32_e32 v11, v26
	global_load_dwordx2 v[26:27], v[10:11], off glc
	s_waitcnt vmcnt(0)
	global_atomic_cmpswap_x2 v[10:11], v2, v[26:29], s[10:11] offset:24 glc
	s_waitcnt vmcnt(0)
	buffer_wbinvl1_vol
	v_cmp_eq_u64_e32 vcc, v[10:11], v[28:29]
	s_or_b64 s[22:23], vcc, s[22:23]
	s_andn2_b64 exec, exec, s[22:23]
	s_cbranch_execnz .LBB6_2300
; %bb.2301:                             ;   in Loop: Header=BB6_2234 Depth=1
	s_or_b64 exec, exec, s[22:23]
.LBB6_2302:                             ;   in Loop: Header=BB6_2234 Depth=1
	s_or_b64 exec, exec, s[20:21]
.LBB6_2303:                             ;   in Loop: Header=BB6_2234 Depth=1
	s_or_b64 exec, exec, s[18:19]
	global_load_dwordx2 v[31:32], v2, s[10:11] offset:40
	global_load_dwordx4 v[26:29], v2, s[10:11]
	v_readfirstlane_b32 s19, v11
	v_readfirstlane_b32 s18, v10
	s_mov_b64 s[20:21], exec
	s_waitcnt vmcnt(1)
	v_readfirstlane_b32 s22, v31
	v_readfirstlane_b32 s23, v32
	s_and_b64 s[22:23], s[22:23], s[18:19]
	s_mul_i32 s24, s23, 24
	s_mul_hi_u32 s25, s22, 24
	s_mul_i32 s40, s22, 24
	s_add_i32 s24, s25, s24
	v_mov_b32_e32 v1, s24
	s_waitcnt vmcnt(0)
	v_add_co_u32_e32 v31, vcc, s40, v26
	v_addc_co_u32_e32 v32, vcc, v27, v1, vcc
	s_and_saveexec_b64 s[24:25], s[6:7]
	s_cbranch_execz .LBB6_2305
; %bb.2304:                             ;   in Loop: Header=BB6_2234 Depth=1
	v_mov_b32_e32 v10, s20
	v_mov_b32_e32 v11, s21
	global_store_dwordx4 v[31:32], v[10:13], off offset:8
.LBB6_2305:                             ;   in Loop: Header=BB6_2234 Depth=1
	s_or_b64 exec, exec, s[24:25]
	s_lshl_b64 s[20:21], s[22:23], 12
	v_mov_b32_e32 v1, s21
	v_add_co_u32_e32 v28, vcc, s20, v28
	v_addc_co_u32_e32 v29, vcc, v29, v1, vcc
	v_cmp_lt_u64_e64 vcc, s[14:15], 57
	s_lshl_b32 s20, s16, 2
	v_cndmask_b32_e32 v1, 0, v37, vcc
	s_add_i32 s20, s20, 28
	v_and_b32_e32 v6, 0xffffff1f, v6
	s_and_b32 s20, s20, 0x1e0
	v_or_b32_e32 v1, v6, v1
	v_or_b32_e32 v6, s20, v1
	v_readfirstlane_b32 s20, v28
	v_readfirstlane_b32 s21, v29
	s_nop 4
	global_store_dwordx4 v34, v[6:9], s[20:21]
	global_store_dwordx4 v34, v[14:17], s[20:21] offset:16
	global_store_dwordx4 v34, v[18:21], s[20:21] offset:32
	;; [unrolled: 1-line block ×3, first 2 shown]
	s_and_saveexec_b64 s[20:21], s[6:7]
	s_cbranch_execz .LBB6_2313
; %bb.2306:                             ;   in Loop: Header=BB6_2234 Depth=1
	global_load_dwordx2 v[16:17], v2, s[10:11] offset:32 glc
	global_load_dwordx2 v[6:7], v2, s[10:11] offset:40
	v_mov_b32_e32 v14, s18
	v_mov_b32_e32 v15, s19
	s_waitcnt vmcnt(0)
	v_readfirstlane_b32 s22, v6
	v_readfirstlane_b32 s23, v7
	s_and_b64 s[22:23], s[22:23], s[18:19]
	s_mul_i32 s23, s23, 24
	s_mul_hi_u32 s24, s22, 24
	s_mul_i32 s22, s22, 24
	s_add_i32 s23, s24, s23
	v_mov_b32_e32 v1, s23
	v_add_co_u32_e32 v10, vcc, s22, v26
	v_addc_co_u32_e32 v11, vcc, v27, v1, vcc
	global_store_dwordx2 v[10:11], v[16:17], off
	s_waitcnt vmcnt(0)
	global_atomic_cmpswap_x2 v[8:9], v2, v[14:17], s[10:11] offset:32 glc
	s_waitcnt vmcnt(0)
	v_cmp_ne_u64_e32 vcc, v[8:9], v[16:17]
	s_and_saveexec_b64 s[22:23], vcc
	s_cbranch_execz .LBB6_2309
; %bb.2307:                             ;   in Loop: Header=BB6_2234 Depth=1
	s_mov_b64 s[24:25], 0
.LBB6_2308:                             ;   Parent Loop BB6_2234 Depth=1
                                        ; =>  This Inner Loop Header: Depth=2
	s_sleep 1
	global_store_dwordx2 v[10:11], v[8:9], off
	v_mov_b32_e32 v6, s18
	v_mov_b32_e32 v7, s19
	s_waitcnt vmcnt(0)
	global_atomic_cmpswap_x2 v[6:7], v2, v[6:9], s[10:11] offset:32 glc
	s_waitcnt vmcnt(0)
	v_cmp_eq_u64_e32 vcc, v[6:7], v[8:9]
	v_mov_b32_e32 v9, v7
	s_or_b64 s[24:25], vcc, s[24:25]
	v_mov_b32_e32 v8, v6
	s_andn2_b64 exec, exec, s[24:25]
	s_cbranch_execnz .LBB6_2308
.LBB6_2309:                             ;   in Loop: Header=BB6_2234 Depth=1
	s_or_b64 exec, exec, s[22:23]
	global_load_dwordx2 v[6:7], v2, s[10:11] offset:16
	s_mov_b64 s[24:25], exec
	v_mbcnt_lo_u32_b32 v1, s24, 0
	v_mbcnt_hi_u32_b32 v1, s25, v1
	v_cmp_eq_u32_e32 vcc, 0, v1
	s_and_saveexec_b64 s[22:23], vcc
	s_cbranch_execz .LBB6_2311
; %bb.2310:                             ;   in Loop: Header=BB6_2234 Depth=1
	s_bcnt1_i32_b64 s24, s[24:25]
	v_mov_b32_e32 v1, s24
	s_waitcnt vmcnt(0)
	global_atomic_add_x2 v[6:7], v[1:2], off offset:8
.LBB6_2311:                             ;   in Loop: Header=BB6_2234 Depth=1
	s_or_b64 exec, exec, s[22:23]
	s_waitcnt vmcnt(0)
	global_load_dwordx2 v[8:9], v[6:7], off offset:16
	s_waitcnt vmcnt(0)
	v_cmp_eq_u64_e32 vcc, 0, v[8:9]
	s_cbranch_vccnz .LBB6_2313
; %bb.2312:                             ;   in Loop: Header=BB6_2234 Depth=1
	global_load_dword v1, v[6:7], off offset:24
	s_waitcnt vmcnt(0)
	v_readfirstlane_b32 s22, v1
	s_and_b32 m0, s22, 0xffffff
	global_store_dwordx2 v[8:9], v[1:2], off
	s_sendmsg sendmsg(MSG_INTERRUPT)
.LBB6_2313:                             ;   in Loop: Header=BB6_2234 Depth=1
	s_or_b64 exec, exec, s[20:21]
	v_add_co_u32_e32 v6, vcc, v28, v34
	v_addc_co_u32_e32 v7, vcc, 0, v29, vcc
	s_branch .LBB6_2317
.LBB6_2314:                             ;   in Loop: Header=BB6_2317 Depth=2
	s_or_b64 exec, exec, s[20:21]
	v_readfirstlane_b32 s20, v1
	s_cmp_eq_u32 s20, 0
	s_cbranch_scc1 .LBB6_2316
; %bb.2315:                             ;   in Loop: Header=BB6_2317 Depth=2
	s_sleep 1
	s_cbranch_execnz .LBB6_2317
	s_branch .LBB6_2319
.LBB6_2316:                             ;   in Loop: Header=BB6_2234 Depth=1
	s_branch .LBB6_2319
.LBB6_2317:                             ;   Parent Loop BB6_2234 Depth=1
                                        ; =>  This Inner Loop Header: Depth=2
	v_mov_b32_e32 v1, 1
	s_and_saveexec_b64 s[20:21], s[6:7]
	s_cbranch_execz .LBB6_2314
; %bb.2318:                             ;   in Loop: Header=BB6_2317 Depth=2
	global_load_dword v1, v[31:32], off offset:20 glc
	s_waitcnt vmcnt(0)
	buffer_wbinvl1_vol
	v_and_b32_e32 v1, 1, v1
	s_branch .LBB6_2314
.LBB6_2319:                             ;   in Loop: Header=BB6_2234 Depth=1
	global_load_dwordx2 v[6:7], v[6:7], off
	s_and_saveexec_b64 s[20:21], s[6:7]
	s_cbranch_execz .LBB6_2233
; %bb.2320:                             ;   in Loop: Header=BB6_2234 Depth=1
	global_load_dwordx2 v[8:9], v2, s[10:11] offset:40
	global_load_dwordx2 v[18:19], v2, s[10:11] offset:24 glc
	global_load_dwordx2 v[10:11], v2, s[10:11]
	s_waitcnt vmcnt(2)
	v_readfirstlane_b32 s22, v8
	v_readfirstlane_b32 s23, v9
	s_add_u32 s24, s22, 1
	s_addc_u32 s25, s23, 0
	s_add_u32 s6, s24, s18
	s_addc_u32 s7, s25, s19
	s_cmp_eq_u64 s[6:7], 0
	s_cselect_b32 s7, s25, s7
	s_cselect_b32 s6, s24, s6
	s_and_b64 s[18:19], s[6:7], s[22:23]
	s_mul_i32 s19, s19, 24
	s_mul_hi_u32 s22, s18, 24
	s_mul_i32 s18, s18, 24
	s_add_i32 s19, s22, s19
	v_mov_b32_e32 v1, s19
	s_waitcnt vmcnt(0)
	v_add_co_u32_e32 v14, vcc, s18, v10
	v_addc_co_u32_e32 v15, vcc, v11, v1, vcc
	v_mov_b32_e32 v16, s6
	global_store_dwordx2 v[14:15], v[18:19], off
	v_mov_b32_e32 v17, s7
	s_waitcnt vmcnt(0)
	global_atomic_cmpswap_x2 v[10:11], v2, v[16:19], s[10:11] offset:24 glc
	s_waitcnt vmcnt(0)
	v_cmp_ne_u64_e32 vcc, v[10:11], v[18:19]
	s_and_b64 exec, exec, vcc
	s_cbranch_execz .LBB6_2233
; %bb.2321:                             ;   in Loop: Header=BB6_2234 Depth=1
	s_mov_b64 s[18:19], 0
.LBB6_2322:                             ;   Parent Loop BB6_2234 Depth=1
                                        ; =>  This Inner Loop Header: Depth=2
	s_sleep 1
	global_store_dwordx2 v[14:15], v[10:11], off
	v_mov_b32_e32 v8, s6
	v_mov_b32_e32 v9, s7
	s_waitcnt vmcnt(0)
	global_atomic_cmpswap_x2 v[8:9], v2, v[8:11], s[10:11] offset:24 glc
	s_waitcnt vmcnt(0)
	v_cmp_eq_u64_e32 vcc, v[8:9], v[10:11]
	v_mov_b32_e32 v11, v9
	s_or_b64 s[18:19], vcc, s[18:19]
	v_mov_b32_e32 v10, v8
	s_andn2_b64 exec, exec, s[18:19]
	s_cbranch_execnz .LBB6_2322
	s_branch .LBB6_2233
.LBB6_2323:
	s_mov_b64 s[6:7], 0
	s_branch .LBB6_2325
.LBB6_2324:
	s_mov_b64 s[6:7], -1
                                        ; implicit-def: $vgpr6_vgpr7
.LBB6_2325:
	s_and_b64 vcc, exec, s[6:7]
	s_cbranch_vccz .LBB6_2352
; %bb.2326:
	v_readfirstlane_b32 s6, v35
	v_mov_b32_e32 v1, 0
	v_mov_b32_e32 v2, 0
	v_cmp_eq_u32_e64 s[6:7], s6, v35
	s_and_saveexec_b64 s[12:13], s[6:7]
	s_cbranch_execz .LBB6_2332
; %bb.2327:
	s_waitcnt vmcnt(0)
	v_mov_b32_e32 v6, 0
	global_load_dwordx2 v[9:10], v6, s[10:11] offset:24 glc
	s_waitcnt vmcnt(0)
	buffer_wbinvl1_vol
	global_load_dwordx2 v[1:2], v6, s[10:11] offset:40
	global_load_dwordx2 v[7:8], v6, s[10:11]
	s_waitcnt vmcnt(1)
	v_and_b32_e32 v1, v1, v9
	v_and_b32_e32 v2, v2, v10
	v_mul_lo_u32 v2, v2, 24
	v_mul_hi_u32 v11, v1, 24
	v_mul_lo_u32 v1, v1, 24
	v_add_u32_e32 v2, v11, v2
	s_waitcnt vmcnt(0)
	v_add_co_u32_e32 v1, vcc, v7, v1
	v_addc_co_u32_e32 v2, vcc, v8, v2, vcc
	global_load_dwordx2 v[7:8], v[1:2], off glc
	s_waitcnt vmcnt(0)
	global_atomic_cmpswap_x2 v[1:2], v6, v[7:10], s[10:11] offset:24 glc
	s_waitcnt vmcnt(0)
	buffer_wbinvl1_vol
	v_cmp_ne_u64_e32 vcc, v[1:2], v[9:10]
	s_and_saveexec_b64 s[14:15], vcc
	s_cbranch_execz .LBB6_2331
; %bb.2328:
	s_mov_b64 s[16:17], 0
.LBB6_2329:                             ; =>This Inner Loop Header: Depth=1
	s_sleep 1
	global_load_dwordx2 v[7:8], v6, s[10:11] offset:40
	global_load_dwordx2 v[11:12], v6, s[10:11]
	v_mov_b32_e32 v10, v2
	v_mov_b32_e32 v9, v1
	s_waitcnt vmcnt(1)
	v_and_b32_e32 v1, v7, v9
	s_waitcnt vmcnt(0)
	v_mad_u64_u32 v[1:2], s[18:19], v1, 24, v[11:12]
	v_and_b32_e32 v7, v8, v10
	v_mad_u64_u32 v[7:8], s[18:19], v7, 24, v[2:3]
	v_mov_b32_e32 v2, v7
	global_load_dwordx2 v[7:8], v[1:2], off glc
	s_waitcnt vmcnt(0)
	global_atomic_cmpswap_x2 v[1:2], v6, v[7:10], s[10:11] offset:24 glc
	s_waitcnt vmcnt(0)
	buffer_wbinvl1_vol
	v_cmp_eq_u64_e32 vcc, v[1:2], v[9:10]
	s_or_b64 s[16:17], vcc, s[16:17]
	s_andn2_b64 exec, exec, s[16:17]
	s_cbranch_execnz .LBB6_2329
; %bb.2330:
	s_or_b64 exec, exec, s[16:17]
.LBB6_2331:
	s_or_b64 exec, exec, s[14:15]
.LBB6_2332:
	s_or_b64 exec, exec, s[12:13]
	s_waitcnt vmcnt(0)
	v_mov_b32_e32 v6, 0
	global_load_dwordx2 v[12:13], v6, s[10:11] offset:40
	global_load_dwordx4 v[8:11], v6, s[10:11]
	v_readfirstlane_b32 s13, v2
	v_readfirstlane_b32 s12, v1
	s_mov_b64 s[14:15], exec
	s_waitcnt vmcnt(1)
	v_readfirstlane_b32 s16, v12
	v_readfirstlane_b32 s17, v13
	s_and_b64 s[16:17], s[16:17], s[12:13]
	s_mul_i32 s18, s17, 24
	s_mul_hi_u32 s19, s16, 24
	s_mul_i32 s20, s16, 24
	s_add_i32 s18, s19, s18
	v_mov_b32_e32 v2, s18
	s_waitcnt vmcnt(0)
	v_add_co_u32_e32 v1, vcc, s20, v8
	v_addc_co_u32_e32 v2, vcc, v9, v2, vcc
	s_and_saveexec_b64 s[18:19], s[6:7]
	s_cbranch_execz .LBB6_2334
; %bb.2333:
	v_mov_b32_e32 v12, s14
	v_mov_b32_e32 v13, s15
	;; [unrolled: 1-line block ×4, first 2 shown]
	global_store_dwordx4 v[1:2], v[12:15], off offset:8
.LBB6_2334:
	s_or_b64 exec, exec, s[18:19]
	s_lshl_b64 s[14:15], s[16:17], 12
	v_mov_b32_e32 v7, s15
	v_add_co_u32_e32 v12, vcc, s14, v10
	v_addc_co_u32_e32 v13, vcc, v11, v7, vcc
	s_movk_i32 s14, 0xff1f
	v_and_or_b32 v4, v4, s14, 32
	s_mov_b32 s16, 0
	v_mov_b32_e32 v7, v6
	v_readfirstlane_b32 s14, v12
	v_readfirstlane_b32 s15, v13
	v_add_co_u32_e32 v10, vcc, v12, v34
	s_mov_b32 s17, s16
	s_mov_b32 s18, s16
	;; [unrolled: 1-line block ×3, first 2 shown]
	s_nop 0
	global_store_dwordx4 v34, v[4:7], s[14:15]
	v_addc_co_u32_e32 v11, vcc, 0, v13, vcc
	v_mov_b32_e32 v4, s16
	v_mov_b32_e32 v5, s17
	;; [unrolled: 1-line block ×4, first 2 shown]
	global_store_dwordx4 v34, v[4:7], s[14:15] offset:16
	global_store_dwordx4 v34, v[4:7], s[14:15] offset:32
	;; [unrolled: 1-line block ×3, first 2 shown]
	s_and_saveexec_b64 s[14:15], s[6:7]
	s_cbranch_execz .LBB6_2342
; %bb.2335:
	v_mov_b32_e32 v12, 0
	global_load_dwordx2 v[15:16], v12, s[10:11] offset:32 glc
	global_load_dwordx2 v[4:5], v12, s[10:11] offset:40
	v_mov_b32_e32 v13, s12
	v_mov_b32_e32 v14, s13
	s_waitcnt vmcnt(0)
	v_readfirstlane_b32 s16, v4
	v_readfirstlane_b32 s17, v5
	s_and_b64 s[16:17], s[16:17], s[12:13]
	s_mul_i32 s17, s17, 24
	s_mul_hi_u32 s18, s16, 24
	s_mul_i32 s16, s16, 24
	s_add_i32 s17, s18, s17
	v_mov_b32_e32 v4, s17
	v_add_co_u32_e32 v8, vcc, s16, v8
	v_addc_co_u32_e32 v9, vcc, v9, v4, vcc
	global_store_dwordx2 v[8:9], v[15:16], off
	s_waitcnt vmcnt(0)
	global_atomic_cmpswap_x2 v[6:7], v12, v[13:16], s[10:11] offset:32 glc
	s_waitcnt vmcnt(0)
	v_cmp_ne_u64_e32 vcc, v[6:7], v[15:16]
	s_and_saveexec_b64 s[16:17], vcc
	s_cbranch_execz .LBB6_2338
; %bb.2336:
	s_mov_b64 s[18:19], 0
.LBB6_2337:                             ; =>This Inner Loop Header: Depth=1
	s_sleep 1
	global_store_dwordx2 v[8:9], v[6:7], off
	v_mov_b32_e32 v4, s12
	v_mov_b32_e32 v5, s13
	s_waitcnt vmcnt(0)
	global_atomic_cmpswap_x2 v[4:5], v12, v[4:7], s[10:11] offset:32 glc
	s_waitcnt vmcnt(0)
	v_cmp_eq_u64_e32 vcc, v[4:5], v[6:7]
	v_mov_b32_e32 v7, v5
	s_or_b64 s[18:19], vcc, s[18:19]
	v_mov_b32_e32 v6, v4
	s_andn2_b64 exec, exec, s[18:19]
	s_cbranch_execnz .LBB6_2337
.LBB6_2338:
	s_or_b64 exec, exec, s[16:17]
	v_mov_b32_e32 v7, 0
	global_load_dwordx2 v[4:5], v7, s[10:11] offset:16
	s_mov_b64 s[16:17], exec
	v_mbcnt_lo_u32_b32 v6, s16, 0
	v_mbcnt_hi_u32_b32 v6, s17, v6
	v_cmp_eq_u32_e32 vcc, 0, v6
	s_and_saveexec_b64 s[18:19], vcc
	s_cbranch_execz .LBB6_2340
; %bb.2339:
	s_bcnt1_i32_b64 s16, s[16:17]
	v_mov_b32_e32 v6, s16
	s_waitcnt vmcnt(0)
	global_atomic_add_x2 v[4:5], v[6:7], off offset:8
.LBB6_2340:
	s_or_b64 exec, exec, s[18:19]
	s_waitcnt vmcnt(0)
	global_load_dwordx2 v[6:7], v[4:5], off offset:16
	s_waitcnt vmcnt(0)
	v_cmp_eq_u64_e32 vcc, 0, v[6:7]
	s_cbranch_vccnz .LBB6_2342
; %bb.2341:
	global_load_dword v4, v[4:5], off offset:24
	v_mov_b32_e32 v5, 0
	s_waitcnt vmcnt(0)
	v_readfirstlane_b32 s16, v4
	s_and_b32 m0, s16, 0xffffff
	global_store_dwordx2 v[6:7], v[4:5], off
	s_sendmsg sendmsg(MSG_INTERRUPT)
.LBB6_2342:
	s_or_b64 exec, exec, s[14:15]
	s_branch .LBB6_2346
.LBB6_2343:                             ;   in Loop: Header=BB6_2346 Depth=1
	s_or_b64 exec, exec, s[14:15]
	v_readfirstlane_b32 s14, v4
	s_cmp_eq_u32 s14, 0
	s_cbranch_scc1 .LBB6_2345
; %bb.2344:                             ;   in Loop: Header=BB6_2346 Depth=1
	s_sleep 1
	s_cbranch_execnz .LBB6_2346
	s_branch .LBB6_2348
.LBB6_2345:
	s_branch .LBB6_2348
.LBB6_2346:                             ; =>This Inner Loop Header: Depth=1
	v_mov_b32_e32 v4, 1
	s_and_saveexec_b64 s[14:15], s[6:7]
	s_cbranch_execz .LBB6_2343
; %bb.2347:                             ;   in Loop: Header=BB6_2346 Depth=1
	global_load_dword v4, v[1:2], off offset:20 glc
	s_waitcnt vmcnt(0)
	buffer_wbinvl1_vol
	v_and_b32_e32 v4, 1, v4
	s_branch .LBB6_2343
.LBB6_2348:
	global_load_dwordx2 v[6:7], v[10:11], off
	s_and_saveexec_b64 s[14:15], s[6:7]
	s_cbranch_execz .LBB6_2351
; %bb.2349:
	v_mov_b32_e32 v4, 0
	global_load_dwordx2 v[1:2], v4, s[10:11] offset:40
	global_load_dwordx2 v[12:13], v4, s[10:11] offset:24 glc
	global_load_dwordx2 v[8:9], v4, s[10:11]
	s_waitcnt vmcnt(2)
	v_readfirstlane_b32 s16, v1
	v_readfirstlane_b32 s17, v2
	s_add_u32 s18, s16, 1
	s_addc_u32 s19, s17, 0
	s_add_u32 s6, s18, s12
	s_addc_u32 s7, s19, s13
	s_cmp_eq_u64 s[6:7], 0
	s_cselect_b32 s7, s19, s7
	s_cselect_b32 s6, s18, s6
	s_and_b64 s[12:13], s[6:7], s[16:17]
	s_mul_i32 s13, s13, 24
	s_mul_hi_u32 s16, s12, 24
	s_mul_i32 s12, s12, 24
	s_add_i32 s13, s16, s13
	v_mov_b32_e32 v2, s13
	s_waitcnt vmcnt(0)
	v_add_co_u32_e32 v1, vcc, s12, v8
	v_addc_co_u32_e32 v2, vcc, v9, v2, vcc
	v_mov_b32_e32 v10, s6
	global_store_dwordx2 v[1:2], v[12:13], off
	v_mov_b32_e32 v11, s7
	s_waitcnt vmcnt(0)
	global_atomic_cmpswap_x2 v[10:11], v4, v[10:13], s[10:11] offset:24 glc
	s_mov_b64 s[12:13], 0
	s_waitcnt vmcnt(0)
	v_cmp_ne_u64_e32 vcc, v[10:11], v[12:13]
	s_and_b64 exec, exec, vcc
	s_cbranch_execz .LBB6_2351
.LBB6_2350:                             ; =>This Inner Loop Header: Depth=1
	s_sleep 1
	global_store_dwordx2 v[1:2], v[10:11], off
	v_mov_b32_e32 v8, s6
	v_mov_b32_e32 v9, s7
	s_waitcnt vmcnt(0)
	global_atomic_cmpswap_x2 v[8:9], v4, v[8:11], s[10:11] offset:24 glc
	s_waitcnt vmcnt(0)
	v_cmp_eq_u64_e32 vcc, v[8:9], v[10:11]
	v_mov_b32_e32 v11, v9
	s_or_b64 s[12:13], vcc, s[12:13]
	v_mov_b32_e32 v10, v8
	s_andn2_b64 exec, exec, s[12:13]
	s_cbranch_execnz .LBB6_2350
.LBB6_2351:
	s_or_b64 exec, exec, s[14:15]
.LBB6_2352:
	v_readfirstlane_b32 s6, v35
	v_mov_b32_e32 v1, 0
	v_mov_b32_e32 v2, 0
	v_cmp_eq_u32_e64 s[6:7], s6, v35
	s_and_saveexec_b64 s[12:13], s[6:7]
	s_cbranch_execz .LBB6_2358
; %bb.2353:
	s_waitcnt vmcnt(0)
	v_mov_b32_e32 v4, 0
	global_load_dwordx2 v[10:11], v4, s[10:11] offset:24 glc
	s_waitcnt vmcnt(0)
	buffer_wbinvl1_vol
	global_load_dwordx2 v[1:2], v4, s[10:11] offset:40
	global_load_dwordx2 v[8:9], v4, s[10:11]
	s_waitcnt vmcnt(1)
	v_and_b32_e32 v1, v1, v10
	v_and_b32_e32 v2, v2, v11
	v_mul_lo_u32 v2, v2, 24
	v_mul_hi_u32 v5, v1, 24
	v_mul_lo_u32 v1, v1, 24
	v_add_u32_e32 v2, v5, v2
	s_waitcnt vmcnt(0)
	v_add_co_u32_e32 v1, vcc, v8, v1
	v_addc_co_u32_e32 v2, vcc, v9, v2, vcc
	global_load_dwordx2 v[8:9], v[1:2], off glc
	s_waitcnt vmcnt(0)
	global_atomic_cmpswap_x2 v[1:2], v4, v[8:11], s[10:11] offset:24 glc
	s_waitcnt vmcnt(0)
	buffer_wbinvl1_vol
	v_cmp_ne_u64_e32 vcc, v[1:2], v[10:11]
	s_and_saveexec_b64 s[14:15], vcc
	s_cbranch_execz .LBB6_2357
; %bb.2354:
	s_mov_b64 s[16:17], 0
.LBB6_2355:                             ; =>This Inner Loop Header: Depth=1
	s_sleep 1
	global_load_dwordx2 v[8:9], v4, s[10:11] offset:40
	global_load_dwordx2 v[12:13], v4, s[10:11]
	v_mov_b32_e32 v11, v2
	v_mov_b32_e32 v10, v1
	s_waitcnt vmcnt(1)
	v_and_b32_e32 v1, v8, v10
	s_waitcnt vmcnt(0)
	v_mad_u64_u32 v[1:2], s[18:19], v1, 24, v[12:13]
	v_and_b32_e32 v5, v9, v11
	v_mad_u64_u32 v[8:9], s[18:19], v5, 24, v[2:3]
	v_mov_b32_e32 v2, v8
	global_load_dwordx2 v[8:9], v[1:2], off glc
	s_waitcnt vmcnt(0)
	global_atomic_cmpswap_x2 v[1:2], v4, v[8:11], s[10:11] offset:24 glc
	s_waitcnt vmcnt(0)
	buffer_wbinvl1_vol
	v_cmp_eq_u64_e32 vcc, v[1:2], v[10:11]
	s_or_b64 s[16:17], vcc, s[16:17]
	s_andn2_b64 exec, exec, s[16:17]
	s_cbranch_execnz .LBB6_2355
; %bb.2356:
	s_or_b64 exec, exec, s[16:17]
.LBB6_2357:
	s_or_b64 exec, exec, s[14:15]
.LBB6_2358:
	s_or_b64 exec, exec, s[12:13]
	v_mov_b32_e32 v9, 0
	global_load_dwordx2 v[4:5], v9, s[10:11] offset:40
	global_load_dwordx4 v[10:13], v9, s[10:11]
	v_readfirstlane_b32 s13, v2
	v_readfirstlane_b32 s12, v1
	s_mov_b64 s[14:15], exec
	s_waitcnt vmcnt(1)
	v_readfirstlane_b32 s16, v4
	v_readfirstlane_b32 s17, v5
	s_and_b64 s[16:17], s[16:17], s[12:13]
	s_mul_i32 s18, s17, 24
	s_mul_hi_u32 s19, s16, 24
	s_mul_i32 s20, s16, 24
	s_add_i32 s18, s19, s18
	v_mov_b32_e32 v2, s18
	s_waitcnt vmcnt(0)
	v_add_co_u32_e32 v1, vcc, s20, v10
	v_addc_co_u32_e32 v2, vcc, v11, v2, vcc
	s_and_saveexec_b64 s[18:19], s[6:7]
	s_cbranch_execz .LBB6_2360
; %bb.2359:
	v_mov_b32_e32 v14, s14
	v_mov_b32_e32 v15, s15
	;; [unrolled: 1-line block ×4, first 2 shown]
	global_store_dwordx4 v[1:2], v[14:17], off offset:8
.LBB6_2360:
	s_or_b64 exec, exec, s[18:19]
	s_lshl_b64 s[14:15], s[16:17], 12
	v_mov_b32_e32 v4, s15
	v_add_co_u32_e32 v5, vcc, s14, v12
	v_addc_co_u32_e32 v4, vcc, v13, v4, vcc
	s_movk_i32 s14, 0xff1f
	v_and_or_b32 v6, v6, s14, 32
	v_add_co_u32_e32 v12, vcc, v5, v34
	v_mov_b32_e32 v8, v36
	v_readfirstlane_b32 s14, v5
	v_readfirstlane_b32 s15, v4
	s_mov_b32 s16, 0
	v_addc_co_u32_e32 v13, vcc, 0, v4, vcc
	s_mov_b32 s17, s16
	s_mov_b32 s18, s16
	s_nop 0
	global_store_dwordx4 v34, v[6:9], s[14:15]
	s_mov_b32 s19, s16
	v_mov_b32_e32 v4, s16
	v_mov_b32_e32 v5, s17
	;; [unrolled: 1-line block ×4, first 2 shown]
	global_store_dwordx4 v34, v[4:7], s[14:15] offset:16
	global_store_dwordx4 v34, v[4:7], s[14:15] offset:32
	;; [unrolled: 1-line block ×3, first 2 shown]
	s_and_saveexec_b64 s[14:15], s[6:7]
	s_cbranch_execz .LBB6_2368
; %bb.2361:
	v_mov_b32_e32 v14, 0
	global_load_dwordx2 v[17:18], v14, s[10:11] offset:32 glc
	global_load_dwordx2 v[4:5], v14, s[10:11] offset:40
	v_mov_b32_e32 v15, s12
	v_mov_b32_e32 v16, s13
	s_waitcnt vmcnt(0)
	v_readfirstlane_b32 s16, v4
	v_readfirstlane_b32 s17, v5
	s_and_b64 s[16:17], s[16:17], s[12:13]
	s_mul_i32 s17, s17, 24
	s_mul_hi_u32 s18, s16, 24
	s_mul_i32 s16, s16, 24
	s_add_i32 s17, s18, s17
	v_mov_b32_e32 v4, s17
	v_add_co_u32_e32 v8, vcc, s16, v10
	v_addc_co_u32_e32 v9, vcc, v11, v4, vcc
	global_store_dwordx2 v[8:9], v[17:18], off
	s_waitcnt vmcnt(0)
	global_atomic_cmpswap_x2 v[6:7], v14, v[15:18], s[10:11] offset:32 glc
	s_waitcnt vmcnt(0)
	v_cmp_ne_u64_e32 vcc, v[6:7], v[17:18]
	s_and_saveexec_b64 s[16:17], vcc
	s_cbranch_execz .LBB6_2364
; %bb.2362:
	s_mov_b64 s[18:19], 0
.LBB6_2363:                             ; =>This Inner Loop Header: Depth=1
	s_sleep 1
	global_store_dwordx2 v[8:9], v[6:7], off
	v_mov_b32_e32 v4, s12
	v_mov_b32_e32 v5, s13
	s_waitcnt vmcnt(0)
	global_atomic_cmpswap_x2 v[4:5], v14, v[4:7], s[10:11] offset:32 glc
	s_waitcnt vmcnt(0)
	v_cmp_eq_u64_e32 vcc, v[4:5], v[6:7]
	v_mov_b32_e32 v7, v5
	s_or_b64 s[18:19], vcc, s[18:19]
	v_mov_b32_e32 v6, v4
	s_andn2_b64 exec, exec, s[18:19]
	s_cbranch_execnz .LBB6_2363
.LBB6_2364:
	s_or_b64 exec, exec, s[16:17]
	v_mov_b32_e32 v7, 0
	global_load_dwordx2 v[4:5], v7, s[10:11] offset:16
	s_mov_b64 s[16:17], exec
	v_mbcnt_lo_u32_b32 v6, s16, 0
	v_mbcnt_hi_u32_b32 v6, s17, v6
	v_cmp_eq_u32_e32 vcc, 0, v6
	s_and_saveexec_b64 s[18:19], vcc
	s_cbranch_execz .LBB6_2366
; %bb.2365:
	s_bcnt1_i32_b64 s16, s[16:17]
	v_mov_b32_e32 v6, s16
	s_waitcnt vmcnt(0)
	global_atomic_add_x2 v[4:5], v[6:7], off offset:8
.LBB6_2366:
	s_or_b64 exec, exec, s[18:19]
	s_waitcnt vmcnt(0)
	global_load_dwordx2 v[6:7], v[4:5], off offset:16
	s_waitcnt vmcnt(0)
	v_cmp_eq_u64_e32 vcc, 0, v[6:7]
	s_cbranch_vccnz .LBB6_2368
; %bb.2367:
	global_load_dword v4, v[4:5], off offset:24
	v_mov_b32_e32 v5, 0
	s_waitcnt vmcnt(0)
	v_readfirstlane_b32 s16, v4
	s_and_b32 m0, s16, 0xffffff
	global_store_dwordx2 v[6:7], v[4:5], off
	s_sendmsg sendmsg(MSG_INTERRUPT)
.LBB6_2368:
	s_or_b64 exec, exec, s[14:15]
	s_branch .LBB6_2372
.LBB6_2369:                             ;   in Loop: Header=BB6_2372 Depth=1
	s_or_b64 exec, exec, s[14:15]
	v_readfirstlane_b32 s14, v4
	s_cmp_eq_u32 s14, 0
	s_cbranch_scc1 .LBB6_2371
; %bb.2370:                             ;   in Loop: Header=BB6_2372 Depth=1
	s_sleep 1
	s_cbranch_execnz .LBB6_2372
	s_branch .LBB6_2374
.LBB6_2371:
	s_branch .LBB6_2374
.LBB6_2372:                             ; =>This Inner Loop Header: Depth=1
	v_mov_b32_e32 v4, 1
	s_and_saveexec_b64 s[14:15], s[6:7]
	s_cbranch_execz .LBB6_2369
; %bb.2373:                             ;   in Loop: Header=BB6_2372 Depth=1
	global_load_dword v4, v[1:2], off offset:20 glc
	s_waitcnt vmcnt(0)
	buffer_wbinvl1_vol
	v_and_b32_e32 v4, 1, v4
	s_branch .LBB6_2369
.LBB6_2374:
	global_load_dwordx2 v[1:2], v[12:13], off
	s_and_saveexec_b64 s[14:15], s[6:7]
	s_cbranch_execz .LBB6_2377
; %bb.2375:
	v_mov_b32_e32 v10, 0
	global_load_dwordx2 v[4:5], v10, s[10:11] offset:40
	global_load_dwordx2 v[13:14], v10, s[10:11] offset:24 glc
	global_load_dwordx2 v[6:7], v10, s[10:11]
	s_waitcnt vmcnt(2)
	v_readfirstlane_b32 s16, v4
	v_readfirstlane_b32 s17, v5
	s_add_u32 s18, s16, 1
	s_addc_u32 s19, s17, 0
	s_add_u32 s6, s18, s12
	s_addc_u32 s7, s19, s13
	s_cmp_eq_u64 s[6:7], 0
	s_cselect_b32 s7, s19, s7
	s_cselect_b32 s6, s18, s6
	s_and_b64 s[12:13], s[6:7], s[16:17]
	s_mul_i32 s13, s13, 24
	s_mul_hi_u32 s16, s12, 24
	s_mul_i32 s12, s12, 24
	s_add_i32 s13, s16, s13
	v_mov_b32_e32 v4, s13
	s_waitcnt vmcnt(0)
	v_add_co_u32_e32 v8, vcc, s12, v6
	v_addc_co_u32_e32 v9, vcc, v7, v4, vcc
	v_mov_b32_e32 v11, s6
	global_store_dwordx2 v[8:9], v[13:14], off
	v_mov_b32_e32 v12, s7
	s_waitcnt vmcnt(0)
	global_atomic_cmpswap_x2 v[6:7], v10, v[11:14], s[10:11] offset:24 glc
	s_mov_b64 s[12:13], 0
	s_waitcnt vmcnt(0)
	v_cmp_ne_u64_e32 vcc, v[6:7], v[13:14]
	s_and_b64 exec, exec, vcc
	s_cbranch_execz .LBB6_2377
.LBB6_2376:                             ; =>This Inner Loop Header: Depth=1
	s_sleep 1
	global_store_dwordx2 v[8:9], v[6:7], off
	v_mov_b32_e32 v4, s6
	v_mov_b32_e32 v5, s7
	s_waitcnt vmcnt(0)
	global_atomic_cmpswap_x2 v[4:5], v10, v[4:7], s[10:11] offset:24 glc
	s_waitcnt vmcnt(0)
	v_cmp_eq_u64_e32 vcc, v[4:5], v[6:7]
	v_mov_b32_e32 v7, v5
	s_or_b64 s[12:13], vcc, s[12:13]
	v_mov_b32_e32 v6, v4
	s_andn2_b64 exec, exec, s[12:13]
	s_cbranch_execnz .LBB6_2376
.LBB6_2377:
	s_or_b64 exec, exec, s[14:15]
	v_readfirstlane_b32 s6, v35
	v_mov_b32_e32 v9, 0
	v_mov_b32_e32 v10, 0
	v_cmp_eq_u32_e64 s[6:7], s6, v35
	s_and_saveexec_b64 s[12:13], s[6:7]
	s_cbranch_execz .LBB6_2383
; %bb.2378:
	v_mov_b32_e32 v4, 0
	global_load_dwordx2 v[7:8], v4, s[10:11] offset:24 glc
	s_waitcnt vmcnt(0)
	buffer_wbinvl1_vol
	global_load_dwordx2 v[5:6], v4, s[10:11] offset:40
	global_load_dwordx2 v[9:10], v4, s[10:11]
	s_waitcnt vmcnt(1)
	v_and_b32_e32 v5, v5, v7
	v_and_b32_e32 v6, v6, v8
	v_mul_lo_u32 v6, v6, 24
	v_mul_hi_u32 v11, v5, 24
	v_mul_lo_u32 v5, v5, 24
	v_add_u32_e32 v6, v11, v6
	s_waitcnt vmcnt(0)
	v_add_co_u32_e32 v5, vcc, v9, v5
	v_addc_co_u32_e32 v6, vcc, v10, v6, vcc
	global_load_dwordx2 v[5:6], v[5:6], off glc
	s_waitcnt vmcnt(0)
	global_atomic_cmpswap_x2 v[9:10], v4, v[5:8], s[10:11] offset:24 glc
	s_waitcnt vmcnt(0)
	buffer_wbinvl1_vol
	v_cmp_ne_u64_e32 vcc, v[9:10], v[7:8]
	s_and_saveexec_b64 s[14:15], vcc
	s_cbranch_execz .LBB6_2382
; %bb.2379:
	s_mov_b64 s[16:17], 0
.LBB6_2380:                             ; =>This Inner Loop Header: Depth=1
	s_sleep 1
	global_load_dwordx2 v[5:6], v4, s[10:11] offset:40
	global_load_dwordx2 v[11:12], v4, s[10:11]
	v_mov_b32_e32 v7, v9
	v_mov_b32_e32 v8, v10
	s_waitcnt vmcnt(1)
	v_and_b32_e32 v5, v5, v7
	s_waitcnt vmcnt(0)
	v_mad_u64_u32 v[9:10], s[18:19], v5, 24, v[11:12]
	v_and_b32_e32 v6, v6, v8
	v_mov_b32_e32 v5, v10
	v_mad_u64_u32 v[5:6], s[18:19], v6, 24, v[5:6]
	v_mov_b32_e32 v10, v5
	global_load_dwordx2 v[5:6], v[9:10], off glc
	s_waitcnt vmcnt(0)
	global_atomic_cmpswap_x2 v[9:10], v4, v[5:8], s[10:11] offset:24 glc
	s_waitcnt vmcnt(0)
	buffer_wbinvl1_vol
	v_cmp_eq_u64_e32 vcc, v[9:10], v[7:8]
	s_or_b64 s[16:17], vcc, s[16:17]
	s_andn2_b64 exec, exec, s[16:17]
	s_cbranch_execnz .LBB6_2380
; %bb.2381:
	s_or_b64 exec, exec, s[16:17]
.LBB6_2382:
	s_or_b64 exec, exec, s[14:15]
.LBB6_2383:
	s_or_b64 exec, exec, s[12:13]
	v_mov_b32_e32 v4, 0
	global_load_dwordx2 v[11:12], v4, s[10:11] offset:40
	global_load_dwordx4 v[5:8], v4, s[10:11]
	v_readfirstlane_b32 s13, v10
	v_readfirstlane_b32 s12, v9
	s_mov_b64 s[14:15], exec
	s_waitcnt vmcnt(1)
	v_readfirstlane_b32 s16, v11
	v_readfirstlane_b32 s17, v12
	s_and_b64 s[16:17], s[16:17], s[12:13]
	s_mul_i32 s18, s17, 24
	s_mul_hi_u32 s19, s16, 24
	s_mul_i32 s20, s16, 24
	s_add_i32 s18, s19, s18
	v_mov_b32_e32 v10, s18
	s_waitcnt vmcnt(0)
	v_add_co_u32_e32 v9, vcc, s20, v5
	v_addc_co_u32_e32 v10, vcc, v6, v10, vcc
	s_and_saveexec_b64 s[18:19], s[6:7]
	s_cbranch_execz .LBB6_2385
; %bb.2384:
	v_mov_b32_e32 v11, s14
	v_mov_b32_e32 v12, s15
	;; [unrolled: 1-line block ×4, first 2 shown]
	global_store_dwordx4 v[9:10], v[11:14], off offset:8
.LBB6_2385:
	s_or_b64 exec, exec, s[18:19]
	s_lshl_b64 s[14:15], s[16:17], 12
	v_mov_b32_e32 v11, s15
	v_add_co_u32_e32 v7, vcc, s14, v7
	v_addc_co_u32_e32 v8, vcc, v8, v11, vcc
	s_movk_i32 s14, 0xff1d
	v_and_or_b32 v1, v1, s14, 34
	v_readfirstlane_b32 s14, v7
	v_readfirstlane_b32 s15, v8
	s_mov_b32 s16, 0
	s_mov_b32 s17, s16
	s_mov_b32 s18, s16
	s_mov_b32 s19, s16
	s_nop 0
	global_store_dwordx4 v34, v[1:4], s[14:15]
	s_nop 0
	v_mov_b32_e32 v1, s16
	v_mov_b32_e32 v2, s17
	;; [unrolled: 1-line block ×4, first 2 shown]
	global_store_dwordx4 v34, v[1:4], s[14:15] offset:16
	global_store_dwordx4 v34, v[1:4], s[14:15] offset:32
	;; [unrolled: 1-line block ×3, first 2 shown]
	s_and_saveexec_b64 s[14:15], s[6:7]
	s_cbranch_execz .LBB6_2393
; %bb.2386:
	v_mov_b32_e32 v7, 0
	global_load_dwordx2 v[13:14], v7, s[10:11] offset:32 glc
	global_load_dwordx2 v[1:2], v7, s[10:11] offset:40
	v_mov_b32_e32 v11, s12
	v_mov_b32_e32 v12, s13
	s_waitcnt vmcnt(0)
	v_readfirstlane_b32 s16, v1
	v_readfirstlane_b32 s17, v2
	s_and_b64 s[16:17], s[16:17], s[12:13]
	s_mul_i32 s17, s17, 24
	s_mul_hi_u32 s18, s16, 24
	s_mul_i32 s16, s16, 24
	s_add_i32 s17, s18, s17
	v_mov_b32_e32 v1, s17
	v_add_co_u32_e32 v5, vcc, s16, v5
	v_addc_co_u32_e32 v6, vcc, v6, v1, vcc
	global_store_dwordx2 v[5:6], v[13:14], off
	s_waitcnt vmcnt(0)
	global_atomic_cmpswap_x2 v[3:4], v7, v[11:14], s[10:11] offset:32 glc
	s_waitcnt vmcnt(0)
	v_cmp_ne_u64_e32 vcc, v[3:4], v[13:14]
	s_and_saveexec_b64 s[16:17], vcc
	s_cbranch_execz .LBB6_2389
; %bb.2387:
	s_mov_b64 s[18:19], 0
.LBB6_2388:                             ; =>This Inner Loop Header: Depth=1
	s_sleep 1
	global_store_dwordx2 v[5:6], v[3:4], off
	v_mov_b32_e32 v1, s12
	v_mov_b32_e32 v2, s13
	s_waitcnt vmcnt(0)
	global_atomic_cmpswap_x2 v[1:2], v7, v[1:4], s[10:11] offset:32 glc
	s_waitcnt vmcnt(0)
	v_cmp_eq_u64_e32 vcc, v[1:2], v[3:4]
	v_mov_b32_e32 v4, v2
	s_or_b64 s[18:19], vcc, s[18:19]
	v_mov_b32_e32 v3, v1
	s_andn2_b64 exec, exec, s[18:19]
	s_cbranch_execnz .LBB6_2388
.LBB6_2389:
	s_or_b64 exec, exec, s[16:17]
	v_mov_b32_e32 v4, 0
	global_load_dwordx2 v[1:2], v4, s[10:11] offset:16
	s_mov_b64 s[16:17], exec
	v_mbcnt_lo_u32_b32 v3, s16, 0
	v_mbcnt_hi_u32_b32 v3, s17, v3
	v_cmp_eq_u32_e32 vcc, 0, v3
	s_and_saveexec_b64 s[18:19], vcc
	s_cbranch_execz .LBB6_2391
; %bb.2390:
	s_bcnt1_i32_b64 s16, s[16:17]
	v_mov_b32_e32 v3, s16
	s_waitcnt vmcnt(0)
	global_atomic_add_x2 v[1:2], v[3:4], off offset:8
.LBB6_2391:
	s_or_b64 exec, exec, s[18:19]
	s_waitcnt vmcnt(0)
	global_load_dwordx2 v[3:4], v[1:2], off offset:16
	s_waitcnt vmcnt(0)
	v_cmp_eq_u64_e32 vcc, 0, v[3:4]
	s_cbranch_vccnz .LBB6_2393
; %bb.2392:
	global_load_dword v1, v[1:2], off offset:24
	v_mov_b32_e32 v2, 0
	s_waitcnt vmcnt(0)
	v_readfirstlane_b32 s16, v1
	s_and_b32 m0, s16, 0xffffff
	global_store_dwordx2 v[3:4], v[1:2], off
	s_sendmsg sendmsg(MSG_INTERRUPT)
.LBB6_2393:
	s_or_b64 exec, exec, s[14:15]
	s_branch .LBB6_2397
.LBB6_2394:                             ;   in Loop: Header=BB6_2397 Depth=1
	s_or_b64 exec, exec, s[14:15]
	v_readfirstlane_b32 s14, v1
	s_cmp_eq_u32 s14, 0
	s_cbranch_scc1 .LBB6_2396
; %bb.2395:                             ;   in Loop: Header=BB6_2397 Depth=1
	s_sleep 1
	s_cbranch_execnz .LBB6_2397
	s_branch .LBB6_2399
.LBB6_2396:
	s_branch .LBB6_2399
.LBB6_2397:                             ; =>This Inner Loop Header: Depth=1
	v_mov_b32_e32 v1, 1
	s_and_saveexec_b64 s[14:15], s[6:7]
	s_cbranch_execz .LBB6_2394
; %bb.2398:                             ;   in Loop: Header=BB6_2397 Depth=1
	global_load_dword v1, v[9:10], off offset:20 glc
	s_waitcnt vmcnt(0)
	buffer_wbinvl1_vol
	v_and_b32_e32 v1, 1, v1
	s_branch .LBB6_2394
.LBB6_2399:
	s_and_b64 exec, exec, s[6:7]
	s_cbranch_execz .LBB6_2402
; %bb.2400:
	v_mov_b32_e32 v7, 0
	global_load_dwordx2 v[1:2], v7, s[10:11] offset:40
	global_load_dwordx2 v[10:11], v7, s[10:11] offset:24 glc
	global_load_dwordx2 v[3:4], v7, s[10:11]
	s_waitcnt vmcnt(2)
	v_readfirstlane_b32 s14, v1
	v_readfirstlane_b32 s15, v2
	s_add_u32 s16, s14, 1
	s_addc_u32 s17, s15, 0
	s_add_u32 s6, s16, s12
	s_addc_u32 s7, s17, s13
	s_cmp_eq_u64 s[6:7], 0
	s_cselect_b32 s7, s17, s7
	s_cselect_b32 s6, s16, s6
	s_and_b64 s[12:13], s[6:7], s[14:15]
	s_mul_i32 s13, s13, 24
	s_mul_hi_u32 s14, s12, 24
	s_mul_i32 s12, s12, 24
	s_add_i32 s13, s14, s13
	v_mov_b32_e32 v1, s13
	s_waitcnt vmcnt(0)
	v_add_co_u32_e32 v5, vcc, s12, v3
	v_addc_co_u32_e32 v6, vcc, v4, v1, vcc
	v_mov_b32_e32 v8, s6
	global_store_dwordx2 v[5:6], v[10:11], off
	v_mov_b32_e32 v9, s7
	s_waitcnt vmcnt(0)
	global_atomic_cmpswap_x2 v[3:4], v7, v[8:11], s[10:11] offset:24 glc
	s_mov_b64 s[12:13], 0
	s_waitcnt vmcnt(0)
	v_cmp_ne_u64_e32 vcc, v[3:4], v[10:11]
	s_and_b64 exec, exec, vcc
	s_cbranch_execz .LBB6_2402
.LBB6_2401:                             ; =>This Inner Loop Header: Depth=1
	s_sleep 1
	global_store_dwordx2 v[5:6], v[3:4], off
	v_mov_b32_e32 v1, s6
	v_mov_b32_e32 v2, s7
	s_waitcnt vmcnt(0)
	global_atomic_cmpswap_x2 v[1:2], v7, v[1:4], s[10:11] offset:24 glc
	s_waitcnt vmcnt(0)
	v_cmp_eq_u64_e32 vcc, v[1:2], v[3:4]
	v_mov_b32_e32 v4, v2
	s_or_b64 s[12:13], vcc, s[12:13]
	v_mov_b32_e32 v3, v1
	s_andn2_b64 exec, exec, s[12:13]
	s_cbranch_execnz .LBB6_2401
.LBB6_2402:
	s_or_b64 exec, exec, s[8:9]
	v_or_b32_e32 v0, v0, v41
	v_cmp_lt_i32_e32 vcc, -1, v0
	s_xor_b64 s[4:5], s[4:5], -1
	s_and_b64 s[4:5], vcc, s[4:5]
	s_mov_b64 s[40:41], 0
                                        ; implicit-def: $vgpr41
	s_and_saveexec_b64 s[6:7], s[4:5]
	s_xor_b64 s[4:5], exec, s[6:7]
	s_cbranch_execz .LBB6_2404
; %bb.2403:
	flat_load_dword v0, v[42:43]
	v_lshl_or_b32 v29, v33, 1, 1
	s_mov_b64 s[40:41], exec
	s_waitcnt vmcnt(0) lgkmcnt(0)
	v_ashrrev_i32_e32 v1, 31, v0
	v_add_u32_e32 v2, 1, v0
	flat_store_dword v[42:43], v2
	v_lshlrev_b64 v[1:2], 3, v[0:1]
	v_lshl_or_b32 v41, v0, 1, 1
	v_add_co_u32_e32 v1, vcc, v42, v1
	v_addc_co_u32_e32 v2, vcc, v43, v2, vcc
	flat_store_dwordx2 v[1:2], v[29:30] offset:8
.LBB6_2404:
	s_or_saveexec_b64 s[42:43], s[4:5]
	s_mov_b64 s[4:5], s[26:27]
	s_xor_b64 exec, exec, s[42:43]
	s_cbranch_execz .LBB6_2406
; %bb.2405:
	s_getpc_b64 s[4:5]
	s_add_u32 s4, s4, .str.46@rel32@lo+4
	s_addc_u32 s5, s5, .str.46@rel32@hi+12
	s_getpc_b64 s[6:7]
	s_add_u32 s6, s6, .str.44@rel32@lo+4
	s_addc_u32 s7, s7, .str.44@rel32@hi+12
	s_getpc_b64 s[10:11]
	s_add_u32 s10, s10, __PRETTY_FUNCTION__._ZN8subgUtil18formAndNodeKeyFlagEiii@rel32@lo+4
	s_addc_u32 s11, s11, __PRETTY_FUNCTION__._ZN8subgUtil18formAndNodeKeyFlagEiii@rel32@hi+12
	s_getpc_b64 s[12:13]
	s_add_u32 s12, s12, __assert_fail@rel32@lo+4
	s_addc_u32 s13, s13, __assert_fail@rel32@hi+12
	s_mov_b64 s[8:9], s[64:65]
	v_mov_b32_e32 v0, s4
	v_mov_b32_e32 v1, s5
	;; [unrolled: 1-line block ×7, first 2 shown]
	s_swappc_b64 s[30:31], s[12:13]
	s_or_b64 s[4:5], s[26:27], exec
.LBB6_2406:
	s_or_b64 exec, exec, s[42:43]
	s_andn2_b64 s[6:7], s[26:27], exec
	s_and_b64 s[4:5], s[4:5], exec
	v_readlane_b32 s50, v62, 4
	v_readlane_b32 s52, v62, 2
	s_or_b64 s[26:27], s[6:7], s[4:5]
	s_and_b64 s[6:7], s[40:41], exec
	v_readlane_b32 s51, v62, 5
	v_readlane_b32 s53, v62, 3
.LBB6_2407:
	s_or_b64 exec, exec, s[28:29]
	s_andn2_b64 s[4:5], s[34:35], exec
	s_and_b64 s[8:9], s[26:27], exec
	v_readlane_b32 s42, v62, 26
	v_readlane_b32 s44, v62, 24
	;; [unrolled: 1-line block ×11, first 2 shown]
	s_or_b64 s[4:5], s[4:5], s[8:9]
	s_orn2_b64 s[6:7], s[6:7], exec
	v_readlane_b32 s43, v62, 27
	v_readlane_b32 s45, v62, 25
	;; [unrolled: 1-line block ×11, first 2 shown]
.LBB6_2408:
	s_or_b64 exec, exec, s[48:49]
	s_mov_b64 s[10:11], s[58:59]
	s_and_saveexec_b64 s[8:9], s[6:7]
; %bb.2409:
	s_or_b64 s[10:11], s[58:59], exec
; %bb.2410:
	s_or_b64 exec, exec, s[8:9]
	s_andn2_b64 s[6:7], s[34:35], exec
	s_and_b64 s[4:5], s[4:5], exec
	s_or_b64 s[8:9], s[6:7], s[4:5]
	s_andn2_b64 s[6:7], s[58:59], exec
	s_and_b64 s[10:11], s[10:11], exec
	s_xor_b64 s[4:5], exec, -1
	s_or_b64 s[6:7], s[6:7], s[10:11]
.LBB6_2411:
	s_or_b64 exec, exec, s[38:39]
	s_andn2_b64 s[10:11], s[34:35], exec
	s_and_b64 s[8:9], s[8:9], exec
	s_or_b64 s[34:35], s[10:11], s[8:9]
	s_andn2_b64 s[8:9], s[58:59], exec
	s_and_b64 s[6:7], s[6:7], exec
	s_and_b64 s[4:5], s[4:5], exec
	s_or_b64 s[6:7], s[8:9], s[6:7]
.LBB6_2412:
	s_or_b64 exec, exec, s[36:37]
	s_andn2_b64 s[8:9], s[52:53], exec
	s_and_b64 s[10:11], s[34:35], exec
	s_or_b64 s[14:15], s[8:9], s[10:11]
	s_andn2_b64 s[8:9], s[58:59], exec
	s_and_b64 s[6:7], s[6:7], exec
	v_readlane_b32 s10, v62, 0
	s_and_b64 s[4:5], s[4:5], exec
	s_or_b64 s[6:7], s[8:9], s[6:7]
	v_readlane_b32 s11, v62, 1
.LBB6_2413:
	s_or_b64 exec, exec, s[10:11]
	s_andn2_b64 s[8:9], s[84:85], exec
	s_and_b64 s[10:11], s[14:15], exec
	s_or_b64 s[84:85], s[8:9], s[10:11]
	s_andn2_b64 s[8:9], s[58:59], exec
	s_and_b64 s[6:7], s[6:7], exec
	s_and_b64 s[4:5], s[4:5], exec
	s_or_b64 s[8:9], s[8:9], s[6:7]
.LBB6_2414:
	s_or_b64 exec, exec, s[50:51]
	s_andn2_b64 s[6:7], s[56:57], exec
	s_and_b64 s[10:11], s[84:85], exec
	s_andn2_b64 s[12:13], s[58:59], exec
	s_and_b64 s[8:9], s[8:9], exec
	s_or_b64 s[10:11], s[6:7], s[10:11]
	s_xor_b64 s[6:7], exec, -1
	s_and_b64 s[4:5], s[4:5], exec
	s_or_b64 s[8:9], s[12:13], s[8:9]
.LBB6_2415:
	s_or_b64 exec, exec, s[54:55]
	s_andn2_b64 s[12:13], s[56:57], exec
	s_and_b64 s[10:11], s[10:11], exec
	s_and_b64 s[88:89], s[6:7], exec
	;; [unrolled: 1-line block ×3, first 2 shown]
	s_andn2_b64 s[4:5], s[58:59], exec
	s_and_b64 s[6:7], s[8:9], exec
	s_or_b64 s[56:57], s[12:13], s[10:11]
	s_or_b64 s[58:59], s[4:5], s[6:7]
.LBB6_2416:
	s_or_b64 exec, exec, s[78:79]
	s_and_saveexec_b64 s[4:5], s[58:59]
	s_or_b64 exec, exec, s[4:5]
	s_and_saveexec_b64 s[4:5], s[76:77]
	s_xor_b64 s[26:27], exec, s[4:5]
	s_cbranch_execz .LBB6_2418
; %bb.2417:
	s_getpc_b64 s[4:5]
	s_add_u32 s4, s4, .str.46@rel32@lo+4
	s_addc_u32 s5, s5, .str.46@rel32@hi+12
	s_getpc_b64 s[6:7]
	s_add_u32 s6, s6, .str.44@rel32@lo+4
	s_addc_u32 s7, s7, .str.44@rel32@hi+12
	s_getpc_b64 s[10:11]
	s_add_u32 s10, s10, __PRETTY_FUNCTION__._ZN8subgUtil18formAndNodeKeyFlagEiii@rel32@lo+4
	s_addc_u32 s11, s11, __PRETTY_FUNCTION__._ZN8subgUtil18formAndNodeKeyFlagEiii@rel32@hi+12
	s_getpc_b64 s[12:13]
	s_add_u32 s12, s12, __assert_fail@rel32@lo+4
	s_addc_u32 s13, s13, __assert_fail@rel32@hi+12
	s_mov_b64 s[8:9], s[64:65]
	v_mov_b32_e32 v0, s4
	v_mov_b32_e32 v1, s5
	;; [unrolled: 1-line block ×7, first 2 shown]
	s_swappc_b64 s[30:31], s[12:13]
	s_or_b64 s[56:57], s[56:57], exec
.LBB6_2418:
	s_or_b64 exec, exec, s[26:27]
	s_and_saveexec_b64 s[26:27], s[88:89]
	s_cbranch_execz .LBB6_2559
; %bb.2419:
	s_load_dwordx2 s[6:7], s[64:65], 0x50
	v_mbcnt_lo_u32_b32 v0, -1, 0
	v_mbcnt_hi_u32_b32 v30, -1, v0
	v_readfirstlane_b32 s4, v30
	v_mov_b32_e32 v5, 0
	v_mov_b32_e32 v6, 0
	v_cmp_eq_u32_e64 s[4:5], s4, v30
	s_and_saveexec_b64 s[8:9], s[4:5]
	s_cbranch_execz .LBB6_2425
; %bb.2420:
	v_mov_b32_e32 v0, 0
	s_waitcnt lgkmcnt(0)
	global_load_dwordx2 v[3:4], v0, s[6:7] offset:24 glc
	s_waitcnt vmcnt(0)
	buffer_wbinvl1_vol
	global_load_dwordx2 v[1:2], v0, s[6:7] offset:40
	global_load_dwordx2 v[5:6], v0, s[6:7]
	s_waitcnt vmcnt(1)
	v_and_b32_e32 v1, v1, v3
	v_and_b32_e32 v2, v2, v4
	v_mul_lo_u32 v2, v2, 24
	v_mul_hi_u32 v7, v1, 24
	v_mul_lo_u32 v1, v1, 24
	v_add_u32_e32 v2, v7, v2
	s_waitcnt vmcnt(0)
	v_add_co_u32_e32 v1, vcc, v5, v1
	v_addc_co_u32_e32 v2, vcc, v6, v2, vcc
	global_load_dwordx2 v[1:2], v[1:2], off glc
	s_waitcnt vmcnt(0)
	global_atomic_cmpswap_x2 v[5:6], v0, v[1:4], s[6:7] offset:24 glc
	s_waitcnt vmcnt(0)
	buffer_wbinvl1_vol
	v_cmp_ne_u64_e32 vcc, v[5:6], v[3:4]
	s_and_saveexec_b64 s[10:11], vcc
	s_cbranch_execz .LBB6_2424
; %bb.2421:
	s_mov_b64 s[12:13], 0
.LBB6_2422:                             ; =>This Inner Loop Header: Depth=1
	s_sleep 1
	global_load_dwordx2 v[1:2], v0, s[6:7] offset:40
	global_load_dwordx2 v[7:8], v0, s[6:7]
	v_mov_b32_e32 v3, v5
	v_mov_b32_e32 v4, v6
	s_waitcnt vmcnt(1)
	v_and_b32_e32 v1, v1, v3
	s_waitcnt vmcnt(0)
	v_mad_u64_u32 v[5:6], s[14:15], v1, 24, v[7:8]
	v_and_b32_e32 v2, v2, v4
	v_mov_b32_e32 v1, v6
	v_mad_u64_u32 v[1:2], s[14:15], v2, 24, v[1:2]
	v_mov_b32_e32 v6, v1
	global_load_dwordx2 v[1:2], v[5:6], off glc
	s_waitcnt vmcnt(0)
	global_atomic_cmpswap_x2 v[5:6], v0, v[1:4], s[6:7] offset:24 glc
	s_waitcnt vmcnt(0)
	buffer_wbinvl1_vol
	v_cmp_eq_u64_e32 vcc, v[5:6], v[3:4]
	s_or_b64 s[12:13], vcc, s[12:13]
	s_andn2_b64 exec, exec, s[12:13]
	s_cbranch_execnz .LBB6_2422
; %bb.2423:
	s_or_b64 exec, exec, s[12:13]
.LBB6_2424:
	s_or_b64 exec, exec, s[10:11]
.LBB6_2425:
	s_or_b64 exec, exec, s[8:9]
	v_mov_b32_e32 v4, 0
	s_waitcnt lgkmcnt(0)
	global_load_dwordx2 v[7:8], v4, s[6:7] offset:40
	global_load_dwordx4 v[0:3], v4, s[6:7]
	v_readfirstlane_b32 s9, v6
	v_readfirstlane_b32 s8, v5
	s_mov_b64 s[10:11], exec
	s_waitcnt vmcnt(0)
	v_readfirstlane_b32 s12, v7
	v_readfirstlane_b32 s13, v8
	s_and_b64 s[12:13], s[12:13], s[8:9]
	s_mul_i32 s14, s13, 24
	s_mul_hi_u32 s15, s12, 24
	s_mul_i32 s16, s12, 24
	s_add_i32 s14, s15, s14
	v_mov_b32_e32 v5, s14
	v_add_co_u32_e32 v7, vcc, s16, v0
	v_addc_co_u32_e32 v8, vcc, v1, v5, vcc
	s_and_saveexec_b64 s[14:15], s[4:5]
	s_cbranch_execz .LBB6_2427
; %bb.2426:
	v_mov_b32_e32 v9, s10
	v_mov_b32_e32 v10, s11
	;; [unrolled: 1-line block ×4, first 2 shown]
	global_store_dwordx4 v[7:8], v[9:12], off offset:8
.LBB6_2427:
	s_or_b64 exec, exec, s[14:15]
	s_lshl_b64 s[10:11], s[12:13], 12
	v_mov_b32_e32 v5, s11
	v_add_co_u32_e32 v2, vcc, s10, v2
	v_addc_co_u32_e32 v11, vcc, v3, v5, vcc
	v_lshlrev_b32_e32 v29, 6, v30
	s_mov_b32 s12, 0
	v_mov_b32_e32 v3, 33
	v_mov_b32_e32 v5, v4
	;; [unrolled: 1-line block ×3, first 2 shown]
	v_readfirstlane_b32 s10, v2
	v_readfirstlane_b32 s11, v11
	v_add_co_u32_e32 v9, vcc, v2, v29
	s_mov_b32 s13, s12
	s_mov_b32 s14, s12
	;; [unrolled: 1-line block ×3, first 2 shown]
	s_nop 0
	global_store_dwordx4 v29, v[3:6], s[10:11]
	v_mov_b32_e32 v2, s12
	v_addc_co_u32_e32 v10, vcc, 0, v11, vcc
	v_mov_b32_e32 v3, s13
	v_mov_b32_e32 v4, s14
	;; [unrolled: 1-line block ×3, first 2 shown]
	global_store_dwordx4 v29, v[2:5], s[10:11] offset:16
	global_store_dwordx4 v29, v[2:5], s[10:11] offset:32
	;; [unrolled: 1-line block ×3, first 2 shown]
	s_and_saveexec_b64 s[10:11], s[4:5]
	s_cbranch_execz .LBB6_2435
; %bb.2428:
	v_mov_b32_e32 v6, 0
	global_load_dwordx2 v[13:14], v6, s[6:7] offset:32 glc
	global_load_dwordx2 v[2:3], v6, s[6:7] offset:40
	v_mov_b32_e32 v11, s8
	v_mov_b32_e32 v12, s9
	s_waitcnt vmcnt(0)
	v_and_b32_e32 v2, s8, v2
	v_and_b32_e32 v3, s9, v3
	v_mul_lo_u32 v3, v3, 24
	v_mul_hi_u32 v4, v2, 24
	v_mul_lo_u32 v2, v2, 24
	v_add_u32_e32 v3, v4, v3
	v_add_co_u32_e32 v4, vcc, v0, v2
	v_addc_co_u32_e32 v5, vcc, v1, v3, vcc
	global_store_dwordx2 v[4:5], v[13:14], off
	s_waitcnt vmcnt(0)
	global_atomic_cmpswap_x2 v[2:3], v6, v[11:14], s[6:7] offset:32 glc
	s_waitcnt vmcnt(0)
	v_cmp_ne_u64_e32 vcc, v[2:3], v[13:14]
	s_and_saveexec_b64 s[12:13], vcc
	s_cbranch_execz .LBB6_2431
; %bb.2429:
	s_mov_b64 s[14:15], 0
.LBB6_2430:                             ; =>This Inner Loop Header: Depth=1
	s_sleep 1
	global_store_dwordx2 v[4:5], v[2:3], off
	v_mov_b32_e32 v0, s8
	v_mov_b32_e32 v1, s9
	s_waitcnt vmcnt(0)
	global_atomic_cmpswap_x2 v[0:1], v6, v[0:3], s[6:7] offset:32 glc
	s_waitcnt vmcnt(0)
	v_cmp_eq_u64_e32 vcc, v[0:1], v[2:3]
	v_mov_b32_e32 v3, v1
	s_or_b64 s[14:15], vcc, s[14:15]
	v_mov_b32_e32 v2, v0
	s_andn2_b64 exec, exec, s[14:15]
	s_cbranch_execnz .LBB6_2430
.LBB6_2431:
	s_or_b64 exec, exec, s[12:13]
	v_mov_b32_e32 v3, 0
	global_load_dwordx2 v[0:1], v3, s[6:7] offset:16
	s_mov_b64 s[12:13], exec
	v_mbcnt_lo_u32_b32 v2, s12, 0
	v_mbcnt_hi_u32_b32 v2, s13, v2
	v_cmp_eq_u32_e32 vcc, 0, v2
	s_and_saveexec_b64 s[14:15], vcc
	s_cbranch_execz .LBB6_2433
; %bb.2432:
	s_bcnt1_i32_b64 s12, s[12:13]
	v_mov_b32_e32 v2, s12
	s_waitcnt vmcnt(0)
	global_atomic_add_x2 v[0:1], v[2:3], off offset:8
.LBB6_2433:
	s_or_b64 exec, exec, s[14:15]
	s_waitcnt vmcnt(0)
	global_load_dwordx2 v[2:3], v[0:1], off offset:16
	s_waitcnt vmcnt(0)
	v_cmp_eq_u64_e32 vcc, 0, v[2:3]
	s_cbranch_vccnz .LBB6_2435
; %bb.2434:
	global_load_dword v0, v[0:1], off offset:24
	v_mov_b32_e32 v1, 0
	s_waitcnt vmcnt(0)
	v_readfirstlane_b32 s12, v0
	s_and_b32 m0, s12, 0xffffff
	global_store_dwordx2 v[2:3], v[0:1], off
	s_sendmsg sendmsg(MSG_INTERRUPT)
.LBB6_2435:
	s_or_b64 exec, exec, s[10:11]
	s_branch .LBB6_2439
.LBB6_2436:                             ;   in Loop: Header=BB6_2439 Depth=1
	s_or_b64 exec, exec, s[10:11]
	v_readfirstlane_b32 s10, v0
	s_cmp_eq_u32 s10, 0
	s_cbranch_scc1 .LBB6_2438
; %bb.2437:                             ;   in Loop: Header=BB6_2439 Depth=1
	s_sleep 1
	s_cbranch_execnz .LBB6_2439
	s_branch .LBB6_2441
.LBB6_2438:
	s_branch .LBB6_2441
.LBB6_2439:                             ; =>This Inner Loop Header: Depth=1
	v_mov_b32_e32 v0, 1
	s_and_saveexec_b64 s[10:11], s[4:5]
	s_cbranch_execz .LBB6_2436
; %bb.2440:                             ;   in Loop: Header=BB6_2439 Depth=1
	global_load_dword v0, v[7:8], off offset:20 glc
	s_waitcnt vmcnt(0)
	buffer_wbinvl1_vol
	v_and_b32_e32 v0, 1, v0
	s_branch .LBB6_2436
.LBB6_2441:
	global_load_dwordx2 v[0:1], v[9:10], off
	s_and_saveexec_b64 s[10:11], s[4:5]
	s_cbranch_execz .LBB6_2444
; %bb.2442:
	v_mov_b32_e32 v8, 0
	global_load_dwordx2 v[2:3], v8, s[6:7] offset:40
	global_load_dwordx2 v[11:12], v8, s[6:7] offset:24 glc
	global_load_dwordx2 v[4:5], v8, s[6:7]
	s_waitcnt vmcnt(2)
	v_readfirstlane_b32 s12, v2
	v_readfirstlane_b32 s13, v3
	s_add_u32 s14, s12, 1
	s_addc_u32 s15, s13, 0
	s_add_u32 s4, s14, s8
	s_addc_u32 s5, s15, s9
	s_cmp_eq_u64 s[4:5], 0
	s_cselect_b32 s5, s15, s5
	s_cselect_b32 s4, s14, s4
	s_and_b64 s[8:9], s[4:5], s[12:13]
	s_mul_i32 s9, s9, 24
	s_mul_hi_u32 s12, s8, 24
	s_mul_i32 s8, s8, 24
	s_add_i32 s9, s12, s9
	v_mov_b32_e32 v2, s9
	s_waitcnt vmcnt(0)
	v_add_co_u32_e32 v6, vcc, s8, v4
	v_addc_co_u32_e32 v7, vcc, v5, v2, vcc
	v_mov_b32_e32 v9, s4
	global_store_dwordx2 v[6:7], v[11:12], off
	v_mov_b32_e32 v10, s5
	s_waitcnt vmcnt(0)
	global_atomic_cmpswap_x2 v[4:5], v8, v[9:12], s[6:7] offset:24 glc
	s_mov_b64 s[8:9], 0
	s_waitcnt vmcnt(0)
	v_cmp_ne_u64_e32 vcc, v[4:5], v[11:12]
	s_and_b64 exec, exec, vcc
	s_cbranch_execz .LBB6_2444
.LBB6_2443:                             ; =>This Inner Loop Header: Depth=1
	s_sleep 1
	global_store_dwordx2 v[6:7], v[4:5], off
	v_mov_b32_e32 v2, s4
	v_mov_b32_e32 v3, s5
	s_waitcnt vmcnt(0)
	global_atomic_cmpswap_x2 v[2:3], v8, v[2:5], s[6:7] offset:24 glc
	s_waitcnt vmcnt(0)
	v_cmp_eq_u64_e32 vcc, v[2:3], v[4:5]
	v_mov_b32_e32 v5, v3
	s_or_b64 s[8:9], vcc, s[8:9]
	v_mov_b32_e32 v4, v2
	s_andn2_b64 exec, exec, s[8:9]
	s_cbranch_execnz .LBB6_2443
.LBB6_2444:
	s_or_b64 exec, exec, s[10:11]
	s_getpc_b64 s[8:9]
	s_add_u32 s8, s8, .str.28@rel32@lo+4
	s_addc_u32 s9, s9, .str.28@rel32@hi+12
	s_cmp_lg_u64 s[8:9], 0
	s_cbranch_scc0 .LBB6_2530
; %bb.2445:
	s_waitcnt vmcnt(0)
	v_and_b32_e32 v6, -3, v0
	v_mov_b32_e32 v7, v1
	s_mov_b64 s[10:11], 35
	v_mov_b32_e32 v26, 0
	v_mov_b32_e32 v4, 2
	;; [unrolled: 1-line block ×3, first 2 shown]
	s_branch .LBB6_2447
.LBB6_2446:                             ;   in Loop: Header=BB6_2447 Depth=1
	s_or_b64 exec, exec, s[16:17]
	s_sub_u32 s10, s10, s12
	s_subb_u32 s11, s11, s13
	s_add_u32 s8, s8, s12
	s_addc_u32 s9, s9, s13
	s_cmp_lg_u64 s[10:11], 0
	s_cbranch_scc0 .LBB6_2529
.LBB6_2447:                             ; =>This Loop Header: Depth=1
                                        ;     Child Loop BB6_2450 Depth 2
                                        ;     Child Loop BB6_2458 Depth 2
	;; [unrolled: 1-line block ×11, first 2 shown]
	v_cmp_lt_u64_e64 s[4:5], s[10:11], 56
	v_cmp_gt_u64_e64 s[14:15], s[10:11], 7
	s_and_b64 s[4:5], s[4:5], exec
	s_cselect_b32 s13, s11, 0
	s_cselect_b32 s12, s10, 56
	s_add_u32 s4, s8, 8
	s_addc_u32 s5, s9, 0
	s_and_b64 vcc, exec, s[14:15]
	s_cbranch_vccnz .LBB6_2451
; %bb.2448:                             ;   in Loop: Header=BB6_2447 Depth=1
	s_cmp_eq_u64 s[10:11], 0
	s_cbranch_scc1 .LBB6_2452
; %bb.2449:                             ;   in Loop: Header=BB6_2447 Depth=1
	s_waitcnt vmcnt(0)
	v_mov_b32_e32 v8, 0
	s_lshl_b64 s[4:5], s[12:13], 3
	s_mov_b64 s[14:15], 0
	v_mov_b32_e32 v9, 0
	s_mov_b64 s[16:17], s[8:9]
.LBB6_2450:                             ;   Parent Loop BB6_2447 Depth=1
                                        ; =>  This Inner Loop Header: Depth=2
	global_load_ubyte v2, v26, s[16:17]
	s_waitcnt vmcnt(0)
	v_and_b32_e32 v25, 0xffff, v2
	v_lshlrev_b64 v[2:3], s14, v[25:26]
	s_add_u32 s14, s14, 8
	s_addc_u32 s15, s15, 0
	s_add_u32 s16, s16, 1
	s_addc_u32 s17, s17, 0
	v_or_b32_e32 v8, v2, v8
	s_cmp_lg_u32 s4, s14
	v_or_b32_e32 v9, v3, v9
	s_cbranch_scc1 .LBB6_2450
	s_branch .LBB6_2453
.LBB6_2451:                             ;   in Loop: Header=BB6_2447 Depth=1
	s_mov_b32 s18, 0
	s_branch .LBB6_2454
.LBB6_2452:                             ;   in Loop: Header=BB6_2447 Depth=1
	s_waitcnt vmcnt(0)
	v_mov_b32_e32 v8, 0
	v_mov_b32_e32 v9, 0
.LBB6_2453:                             ;   in Loop: Header=BB6_2447 Depth=1
	s_mov_b64 s[4:5], s[8:9]
	s_mov_b32 s18, 0
	s_cbranch_execnz .LBB6_2455
.LBB6_2454:                             ;   in Loop: Header=BB6_2447 Depth=1
	global_load_dwordx2 v[8:9], v26, s[8:9]
	s_add_i32 s18, s12, -8
.LBB6_2455:                             ;   in Loop: Header=BB6_2447 Depth=1
	s_add_u32 s14, s4, 8
	s_addc_u32 s15, s5, 0
	s_cmp_gt_u32 s18, 7
	s_cbranch_scc1 .LBB6_2459
; %bb.2456:                             ;   in Loop: Header=BB6_2447 Depth=1
	s_cmp_eq_u32 s18, 0
	s_cbranch_scc1 .LBB6_2460
; %bb.2457:                             ;   in Loop: Header=BB6_2447 Depth=1
	v_mov_b32_e32 v10, 0
	s_mov_b64 s[14:15], 0
	v_mov_b32_e32 v11, 0
	s_mov_b64 s[16:17], 0
.LBB6_2458:                             ;   Parent Loop BB6_2447 Depth=1
                                        ; =>  This Inner Loop Header: Depth=2
	s_add_u32 s20, s4, s16
	s_addc_u32 s21, s5, s17
	global_load_ubyte v2, v26, s[20:21]
	s_add_u32 s16, s16, 1
	s_addc_u32 s17, s17, 0
	s_waitcnt vmcnt(0)
	v_and_b32_e32 v25, 0xffff, v2
	v_lshlrev_b64 v[2:3], s14, v[25:26]
	s_add_u32 s14, s14, 8
	s_addc_u32 s15, s15, 0
	v_or_b32_e32 v10, v2, v10
	s_cmp_lg_u32 s18, s16
	v_or_b32_e32 v11, v3, v11
	s_cbranch_scc1 .LBB6_2458
	s_branch .LBB6_2461
.LBB6_2459:                             ;   in Loop: Header=BB6_2447 Depth=1
                                        ; implicit-def: $vgpr10_vgpr11
	s_mov_b32 s19, 0
	s_branch .LBB6_2462
.LBB6_2460:                             ;   in Loop: Header=BB6_2447 Depth=1
	v_mov_b32_e32 v10, 0
	v_mov_b32_e32 v11, 0
.LBB6_2461:                             ;   in Loop: Header=BB6_2447 Depth=1
	s_mov_b64 s[14:15], s[4:5]
	s_mov_b32 s19, 0
	s_cbranch_execnz .LBB6_2463
.LBB6_2462:                             ;   in Loop: Header=BB6_2447 Depth=1
	global_load_dwordx2 v[10:11], v26, s[4:5]
	s_add_i32 s19, s18, -8
.LBB6_2463:                             ;   in Loop: Header=BB6_2447 Depth=1
	s_add_u32 s4, s14, 8
	s_addc_u32 s5, s15, 0
	s_cmp_gt_u32 s19, 7
	s_cbranch_scc1 .LBB6_2467
; %bb.2464:                             ;   in Loop: Header=BB6_2447 Depth=1
	s_cmp_eq_u32 s19, 0
	s_cbranch_scc1 .LBB6_2468
; %bb.2465:                             ;   in Loop: Header=BB6_2447 Depth=1
	v_mov_b32_e32 v12, 0
	s_mov_b64 s[4:5], 0
	v_mov_b32_e32 v13, 0
	s_mov_b64 s[16:17], 0
.LBB6_2466:                             ;   Parent Loop BB6_2447 Depth=1
                                        ; =>  This Inner Loop Header: Depth=2
	s_add_u32 s20, s14, s16
	s_addc_u32 s21, s15, s17
	global_load_ubyte v2, v26, s[20:21]
	s_add_u32 s16, s16, 1
	s_addc_u32 s17, s17, 0
	s_waitcnt vmcnt(0)
	v_and_b32_e32 v25, 0xffff, v2
	v_lshlrev_b64 v[2:3], s4, v[25:26]
	s_add_u32 s4, s4, 8
	s_addc_u32 s5, s5, 0
	v_or_b32_e32 v12, v2, v12
	s_cmp_lg_u32 s19, s16
	v_or_b32_e32 v13, v3, v13
	s_cbranch_scc1 .LBB6_2466
	s_branch .LBB6_2469
.LBB6_2467:                             ;   in Loop: Header=BB6_2447 Depth=1
	s_mov_b32 s18, 0
	s_branch .LBB6_2470
.LBB6_2468:                             ;   in Loop: Header=BB6_2447 Depth=1
	v_mov_b32_e32 v12, 0
	v_mov_b32_e32 v13, 0
.LBB6_2469:                             ;   in Loop: Header=BB6_2447 Depth=1
	s_mov_b64 s[4:5], s[14:15]
	s_mov_b32 s18, 0
	s_cbranch_execnz .LBB6_2471
.LBB6_2470:                             ;   in Loop: Header=BB6_2447 Depth=1
	global_load_dwordx2 v[12:13], v26, s[14:15]
	s_add_i32 s18, s19, -8
.LBB6_2471:                             ;   in Loop: Header=BB6_2447 Depth=1
	s_add_u32 s14, s4, 8
	s_addc_u32 s15, s5, 0
	s_cmp_gt_u32 s18, 7
	s_cbranch_scc1 .LBB6_2475
; %bb.2472:                             ;   in Loop: Header=BB6_2447 Depth=1
	s_cmp_eq_u32 s18, 0
	s_cbranch_scc1 .LBB6_2476
; %bb.2473:                             ;   in Loop: Header=BB6_2447 Depth=1
	v_mov_b32_e32 v14, 0
	s_mov_b64 s[14:15], 0
	v_mov_b32_e32 v15, 0
	s_mov_b64 s[16:17], 0
.LBB6_2474:                             ;   Parent Loop BB6_2447 Depth=1
                                        ; =>  This Inner Loop Header: Depth=2
	s_add_u32 s20, s4, s16
	s_addc_u32 s21, s5, s17
	global_load_ubyte v2, v26, s[20:21]
	s_add_u32 s16, s16, 1
	s_addc_u32 s17, s17, 0
	s_waitcnt vmcnt(0)
	v_and_b32_e32 v25, 0xffff, v2
	v_lshlrev_b64 v[2:3], s14, v[25:26]
	s_add_u32 s14, s14, 8
	s_addc_u32 s15, s15, 0
	v_or_b32_e32 v14, v2, v14
	s_cmp_lg_u32 s18, s16
	v_or_b32_e32 v15, v3, v15
	s_cbranch_scc1 .LBB6_2474
	s_branch .LBB6_2477
.LBB6_2475:                             ;   in Loop: Header=BB6_2447 Depth=1
                                        ; implicit-def: $vgpr14_vgpr15
	s_mov_b32 s19, 0
	s_branch .LBB6_2478
.LBB6_2476:                             ;   in Loop: Header=BB6_2447 Depth=1
	v_mov_b32_e32 v14, 0
	v_mov_b32_e32 v15, 0
.LBB6_2477:                             ;   in Loop: Header=BB6_2447 Depth=1
	s_mov_b64 s[14:15], s[4:5]
	s_mov_b32 s19, 0
	s_cbranch_execnz .LBB6_2479
.LBB6_2478:                             ;   in Loop: Header=BB6_2447 Depth=1
	global_load_dwordx2 v[14:15], v26, s[4:5]
	s_add_i32 s19, s18, -8
.LBB6_2479:                             ;   in Loop: Header=BB6_2447 Depth=1
	s_add_u32 s4, s14, 8
	s_addc_u32 s5, s15, 0
	s_cmp_gt_u32 s19, 7
	s_cbranch_scc1 .LBB6_2483
; %bb.2480:                             ;   in Loop: Header=BB6_2447 Depth=1
	s_cmp_eq_u32 s19, 0
	s_cbranch_scc1 .LBB6_2484
; %bb.2481:                             ;   in Loop: Header=BB6_2447 Depth=1
	v_mov_b32_e32 v16, 0
	s_mov_b64 s[4:5], 0
	v_mov_b32_e32 v17, 0
	s_mov_b64 s[16:17], 0
.LBB6_2482:                             ;   Parent Loop BB6_2447 Depth=1
                                        ; =>  This Inner Loop Header: Depth=2
	s_add_u32 s20, s14, s16
	s_addc_u32 s21, s15, s17
	global_load_ubyte v2, v26, s[20:21]
	s_add_u32 s16, s16, 1
	s_addc_u32 s17, s17, 0
	s_waitcnt vmcnt(0)
	v_and_b32_e32 v25, 0xffff, v2
	v_lshlrev_b64 v[2:3], s4, v[25:26]
	s_add_u32 s4, s4, 8
	s_addc_u32 s5, s5, 0
	v_or_b32_e32 v16, v2, v16
	s_cmp_lg_u32 s19, s16
	v_or_b32_e32 v17, v3, v17
	s_cbranch_scc1 .LBB6_2482
	s_branch .LBB6_2485
.LBB6_2483:                             ;   in Loop: Header=BB6_2447 Depth=1
	s_mov_b32 s18, 0
	s_branch .LBB6_2486
.LBB6_2484:                             ;   in Loop: Header=BB6_2447 Depth=1
	v_mov_b32_e32 v16, 0
	v_mov_b32_e32 v17, 0
.LBB6_2485:                             ;   in Loop: Header=BB6_2447 Depth=1
	s_mov_b64 s[4:5], s[14:15]
	s_mov_b32 s18, 0
	s_cbranch_execnz .LBB6_2487
.LBB6_2486:                             ;   in Loop: Header=BB6_2447 Depth=1
	global_load_dwordx2 v[16:17], v26, s[14:15]
	s_add_i32 s18, s19, -8
.LBB6_2487:                             ;   in Loop: Header=BB6_2447 Depth=1
	s_add_u32 s14, s4, 8
	s_addc_u32 s15, s5, 0
	s_cmp_gt_u32 s18, 7
	s_cbranch_scc1 .LBB6_2491
; %bb.2488:                             ;   in Loop: Header=BB6_2447 Depth=1
	s_cmp_eq_u32 s18, 0
	s_cbranch_scc1 .LBB6_2492
; %bb.2489:                             ;   in Loop: Header=BB6_2447 Depth=1
	v_mov_b32_e32 v18, 0
	s_mov_b64 s[14:15], 0
	v_mov_b32_e32 v19, 0
	s_mov_b64 s[16:17], 0
.LBB6_2490:                             ;   Parent Loop BB6_2447 Depth=1
                                        ; =>  This Inner Loop Header: Depth=2
	s_add_u32 s20, s4, s16
	s_addc_u32 s21, s5, s17
	global_load_ubyte v2, v26, s[20:21]
	s_add_u32 s16, s16, 1
	s_addc_u32 s17, s17, 0
	s_waitcnt vmcnt(0)
	v_and_b32_e32 v25, 0xffff, v2
	v_lshlrev_b64 v[2:3], s14, v[25:26]
	s_add_u32 s14, s14, 8
	s_addc_u32 s15, s15, 0
	v_or_b32_e32 v18, v2, v18
	s_cmp_lg_u32 s18, s16
	v_or_b32_e32 v19, v3, v19
	s_cbranch_scc1 .LBB6_2490
	s_branch .LBB6_2493
.LBB6_2491:                             ;   in Loop: Header=BB6_2447 Depth=1
                                        ; implicit-def: $vgpr18_vgpr19
	s_mov_b32 s19, 0
	s_branch .LBB6_2494
.LBB6_2492:                             ;   in Loop: Header=BB6_2447 Depth=1
	v_mov_b32_e32 v18, 0
	v_mov_b32_e32 v19, 0
.LBB6_2493:                             ;   in Loop: Header=BB6_2447 Depth=1
	s_mov_b64 s[14:15], s[4:5]
	s_mov_b32 s19, 0
	s_cbranch_execnz .LBB6_2495
.LBB6_2494:                             ;   in Loop: Header=BB6_2447 Depth=1
	global_load_dwordx2 v[18:19], v26, s[4:5]
	s_add_i32 s19, s18, -8
.LBB6_2495:                             ;   in Loop: Header=BB6_2447 Depth=1
	s_cmp_gt_u32 s19, 7
	s_cbranch_scc1 .LBB6_2499
; %bb.2496:                             ;   in Loop: Header=BB6_2447 Depth=1
	s_cmp_eq_u32 s19, 0
	s_cbranch_scc1 .LBB6_2500
; %bb.2497:                             ;   in Loop: Header=BB6_2447 Depth=1
	v_mov_b32_e32 v20, 0
	s_mov_b64 s[4:5], 0
	v_mov_b32_e32 v21, 0
	s_mov_b64 s[16:17], s[14:15]
.LBB6_2498:                             ;   Parent Loop BB6_2447 Depth=1
                                        ; =>  This Inner Loop Header: Depth=2
	global_load_ubyte v2, v26, s[16:17]
	s_add_i32 s19, s19, -1
	s_waitcnt vmcnt(0)
	v_and_b32_e32 v25, 0xffff, v2
	v_lshlrev_b64 v[2:3], s4, v[25:26]
	s_add_u32 s4, s4, 8
	s_addc_u32 s5, s5, 0
	s_add_u32 s16, s16, 1
	s_addc_u32 s17, s17, 0
	v_or_b32_e32 v20, v2, v20
	s_cmp_lg_u32 s19, 0
	v_or_b32_e32 v21, v3, v21
	s_cbranch_scc1 .LBB6_2498
	s_branch .LBB6_2501
.LBB6_2499:                             ;   in Loop: Header=BB6_2447 Depth=1
	s_branch .LBB6_2502
.LBB6_2500:                             ;   in Loop: Header=BB6_2447 Depth=1
	v_mov_b32_e32 v20, 0
	v_mov_b32_e32 v21, 0
.LBB6_2501:                             ;   in Loop: Header=BB6_2447 Depth=1
	s_cbranch_execnz .LBB6_2503
.LBB6_2502:                             ;   in Loop: Header=BB6_2447 Depth=1
	global_load_dwordx2 v[20:21], v26, s[14:15]
.LBB6_2503:                             ;   in Loop: Header=BB6_2447 Depth=1
	v_readfirstlane_b32 s4, v30
	v_mov_b32_e32 v2, 0
	v_mov_b32_e32 v3, 0
	v_cmp_eq_u32_e64 s[4:5], s4, v30
	s_and_saveexec_b64 s[14:15], s[4:5]
	s_cbranch_execz .LBB6_2509
; %bb.2504:                             ;   in Loop: Header=BB6_2447 Depth=1
	global_load_dwordx2 v[24:25], v26, s[6:7] offset:24 glc
	s_waitcnt vmcnt(0)
	buffer_wbinvl1_vol
	global_load_dwordx2 v[2:3], v26, s[6:7] offset:40
	global_load_dwordx2 v[22:23], v26, s[6:7]
	s_waitcnt vmcnt(1)
	v_and_b32_e32 v2, v2, v24
	v_and_b32_e32 v3, v3, v25
	v_mul_lo_u32 v3, v3, 24
	v_mul_hi_u32 v27, v2, 24
	v_mul_lo_u32 v2, v2, 24
	v_add_u32_e32 v3, v27, v3
	s_waitcnt vmcnt(0)
	v_add_co_u32_e32 v2, vcc, v22, v2
	v_addc_co_u32_e32 v3, vcc, v23, v3, vcc
	global_load_dwordx2 v[22:23], v[2:3], off glc
	s_waitcnt vmcnt(0)
	global_atomic_cmpswap_x2 v[2:3], v26, v[22:25], s[6:7] offset:24 glc
	s_waitcnt vmcnt(0)
	buffer_wbinvl1_vol
	v_cmp_ne_u64_e32 vcc, v[2:3], v[24:25]
	s_and_saveexec_b64 s[16:17], vcc
	s_cbranch_execz .LBB6_2508
; %bb.2505:                             ;   in Loop: Header=BB6_2447 Depth=1
	s_mov_b64 s[18:19], 0
.LBB6_2506:                             ;   Parent Loop BB6_2447 Depth=1
                                        ; =>  This Inner Loop Header: Depth=2
	s_sleep 1
	global_load_dwordx2 v[22:23], v26, s[6:7] offset:40
	global_load_dwordx2 v[27:28], v26, s[6:7]
	v_mov_b32_e32 v25, v3
	v_mov_b32_e32 v24, v2
	s_waitcnt vmcnt(1)
	v_and_b32_e32 v2, v22, v24
	s_waitcnt vmcnt(0)
	v_mad_u64_u32 v[2:3], s[20:21], v2, 24, v[27:28]
	v_and_b32_e32 v22, v23, v25
	v_mad_u64_u32 v[22:23], s[20:21], v22, 24, v[3:4]
	v_mov_b32_e32 v3, v22
	global_load_dwordx2 v[22:23], v[2:3], off glc
	s_waitcnt vmcnt(0)
	global_atomic_cmpswap_x2 v[2:3], v26, v[22:25], s[6:7] offset:24 glc
	s_waitcnt vmcnt(0)
	buffer_wbinvl1_vol
	v_cmp_eq_u64_e32 vcc, v[2:3], v[24:25]
	s_or_b64 s[18:19], vcc, s[18:19]
	s_andn2_b64 exec, exec, s[18:19]
	s_cbranch_execnz .LBB6_2506
; %bb.2507:                             ;   in Loop: Header=BB6_2447 Depth=1
	s_or_b64 exec, exec, s[18:19]
.LBB6_2508:                             ;   in Loop: Header=BB6_2447 Depth=1
	s_or_b64 exec, exec, s[16:17]
.LBB6_2509:                             ;   in Loop: Header=BB6_2447 Depth=1
	s_or_b64 exec, exec, s[14:15]
	global_load_dwordx2 v[27:28], v26, s[6:7] offset:40
	global_load_dwordx4 v[22:25], v26, s[6:7]
	v_readfirstlane_b32 s15, v3
	v_readfirstlane_b32 s14, v2
	s_mov_b64 s[16:17], exec
	s_waitcnt vmcnt(1)
	v_readfirstlane_b32 s18, v27
	v_readfirstlane_b32 s19, v28
	s_and_b64 s[18:19], s[18:19], s[14:15]
	s_mul_i32 s20, s19, 24
	s_mul_hi_u32 s21, s18, 24
	s_mul_i32 s22, s18, 24
	s_add_i32 s20, s21, s20
	v_mov_b32_e32 v2, s20
	s_waitcnt vmcnt(0)
	v_add_co_u32_e32 v27, vcc, s22, v22
	v_addc_co_u32_e32 v28, vcc, v23, v2, vcc
	s_and_saveexec_b64 s[20:21], s[4:5]
	s_cbranch_execz .LBB6_2511
; %bb.2510:                             ;   in Loop: Header=BB6_2447 Depth=1
	v_mov_b32_e32 v2, s16
	v_mov_b32_e32 v3, s17
	global_store_dwordx4 v[27:28], v[2:5], off offset:8
.LBB6_2511:                             ;   in Loop: Header=BB6_2447 Depth=1
	s_or_b64 exec, exec, s[20:21]
	s_lshl_b64 s[16:17], s[18:19], 12
	v_cmp_gt_u64_e64 s[18:19], s[10:11], 56
	v_mov_b32_e32 v2, s17
	v_add_co_u32_e32 v24, vcc, s16, v24
	s_and_b64 s[16:17], s[18:19], exec
	s_cselect_b32 s16, 0, 2
	s_lshl_b32 s17, s12, 2
	v_addc_co_u32_e32 v31, vcc, v25, v2, vcc
	s_add_i32 s17, s17, 28
	v_and_b32_e32 v2, 0xffffff1f, v6
	s_and_b32 s17, s17, 0x1e0
	v_or_b32_e32 v2, s16, v2
	v_or_b32_e32 v6, s17, v2
	v_readfirstlane_b32 s16, v24
	v_readfirstlane_b32 s17, v31
	s_nop 4
	global_store_dwordx4 v29, v[6:9], s[16:17]
	global_store_dwordx4 v29, v[10:13], s[16:17] offset:16
	global_store_dwordx4 v29, v[14:17], s[16:17] offset:32
	;; [unrolled: 1-line block ×3, first 2 shown]
	s_and_saveexec_b64 s[16:17], s[4:5]
	s_cbranch_execz .LBB6_2519
; %bb.2512:                             ;   in Loop: Header=BB6_2447 Depth=1
	global_load_dwordx2 v[10:11], v26, s[6:7] offset:32 glc
	global_load_dwordx2 v[2:3], v26, s[6:7] offset:40
	v_mov_b32_e32 v8, s14
	v_mov_b32_e32 v9, s15
	s_waitcnt vmcnt(0)
	v_readfirstlane_b32 s18, v2
	v_readfirstlane_b32 s19, v3
	s_and_b64 s[18:19], s[18:19], s[14:15]
	s_mul_i32 s19, s19, 24
	s_mul_hi_u32 s20, s18, 24
	s_mul_i32 s18, s18, 24
	s_add_i32 s19, s20, s19
	v_mov_b32_e32 v3, s19
	v_add_co_u32_e32 v2, vcc, s18, v22
	v_addc_co_u32_e32 v3, vcc, v23, v3, vcc
	global_store_dwordx2 v[2:3], v[10:11], off
	s_waitcnt vmcnt(0)
	global_atomic_cmpswap_x2 v[8:9], v26, v[8:11], s[6:7] offset:32 glc
	s_waitcnt vmcnt(0)
	v_cmp_ne_u64_e32 vcc, v[8:9], v[10:11]
	s_and_saveexec_b64 s[18:19], vcc
	s_cbranch_execz .LBB6_2515
; %bb.2513:                             ;   in Loop: Header=BB6_2447 Depth=1
	s_mov_b64 s[20:21], 0
.LBB6_2514:                             ;   Parent Loop BB6_2447 Depth=1
                                        ; =>  This Inner Loop Header: Depth=2
	s_sleep 1
	global_store_dwordx2 v[2:3], v[8:9], off
	v_mov_b32_e32 v6, s14
	v_mov_b32_e32 v7, s15
	s_waitcnt vmcnt(0)
	global_atomic_cmpswap_x2 v[6:7], v26, v[6:9], s[6:7] offset:32 glc
	s_waitcnt vmcnt(0)
	v_cmp_eq_u64_e32 vcc, v[6:7], v[8:9]
	v_mov_b32_e32 v9, v7
	s_or_b64 s[20:21], vcc, s[20:21]
	v_mov_b32_e32 v8, v6
	s_andn2_b64 exec, exec, s[20:21]
	s_cbranch_execnz .LBB6_2514
.LBB6_2515:                             ;   in Loop: Header=BB6_2447 Depth=1
	s_or_b64 exec, exec, s[18:19]
	global_load_dwordx2 v[2:3], v26, s[6:7] offset:16
	s_mov_b64 s[20:21], exec
	v_mbcnt_lo_u32_b32 v6, s20, 0
	v_mbcnt_hi_u32_b32 v6, s21, v6
	v_cmp_eq_u32_e32 vcc, 0, v6
	s_and_saveexec_b64 s[18:19], vcc
	s_cbranch_execz .LBB6_2517
; %bb.2516:                             ;   in Loop: Header=BB6_2447 Depth=1
	s_bcnt1_i32_b64 s20, s[20:21]
	v_mov_b32_e32 v25, s20
	s_waitcnt vmcnt(0)
	global_atomic_add_x2 v[2:3], v[25:26], off offset:8
.LBB6_2517:                             ;   in Loop: Header=BB6_2447 Depth=1
	s_or_b64 exec, exec, s[18:19]
	s_waitcnt vmcnt(0)
	global_load_dwordx2 v[6:7], v[2:3], off offset:16
	s_waitcnt vmcnt(0)
	v_cmp_eq_u64_e32 vcc, 0, v[6:7]
	s_cbranch_vccnz .LBB6_2519
; %bb.2518:                             ;   in Loop: Header=BB6_2447 Depth=1
	global_load_dword v25, v[2:3], off offset:24
	s_waitcnt vmcnt(0)
	v_readfirstlane_b32 s18, v25
	s_and_b32 m0, s18, 0xffffff
	global_store_dwordx2 v[6:7], v[25:26], off
	s_sendmsg sendmsg(MSG_INTERRUPT)
.LBB6_2519:                             ;   in Loop: Header=BB6_2447 Depth=1
	s_or_b64 exec, exec, s[16:17]
	v_add_co_u32_e32 v2, vcc, v24, v29
	v_addc_co_u32_e32 v3, vcc, 0, v31, vcc
	s_branch .LBB6_2523
.LBB6_2520:                             ;   in Loop: Header=BB6_2523 Depth=2
	s_or_b64 exec, exec, s[16:17]
	v_readfirstlane_b32 s16, v6
	s_cmp_eq_u32 s16, 0
	s_cbranch_scc1 .LBB6_2522
; %bb.2521:                             ;   in Loop: Header=BB6_2523 Depth=2
	s_sleep 1
	s_cbranch_execnz .LBB6_2523
	s_branch .LBB6_2525
.LBB6_2522:                             ;   in Loop: Header=BB6_2447 Depth=1
	s_branch .LBB6_2525
.LBB6_2523:                             ;   Parent Loop BB6_2447 Depth=1
                                        ; =>  This Inner Loop Header: Depth=2
	v_mov_b32_e32 v6, 1
	s_and_saveexec_b64 s[16:17], s[4:5]
	s_cbranch_execz .LBB6_2520
; %bb.2524:                             ;   in Loop: Header=BB6_2523 Depth=2
	global_load_dword v6, v[27:28], off offset:20 glc
	s_waitcnt vmcnt(0)
	buffer_wbinvl1_vol
	v_and_b32_e32 v6, 1, v6
	s_branch .LBB6_2520
.LBB6_2525:                             ;   in Loop: Header=BB6_2447 Depth=1
	global_load_dwordx4 v[6:9], v[2:3], off
	s_and_saveexec_b64 s[16:17], s[4:5]
	s_cbranch_execz .LBB6_2446
; %bb.2526:                             ;   in Loop: Header=BB6_2447 Depth=1
	global_load_dwordx2 v[2:3], v26, s[6:7] offset:40
	global_load_dwordx2 v[12:13], v26, s[6:7] offset:24 glc
	global_load_dwordx2 v[8:9], v26, s[6:7]
	s_waitcnt vmcnt(2)
	v_readfirstlane_b32 s18, v2
	v_readfirstlane_b32 s19, v3
	s_add_u32 s20, s18, 1
	s_addc_u32 s21, s19, 0
	s_add_u32 s4, s20, s14
	s_addc_u32 s5, s21, s15
	s_cmp_eq_u64 s[4:5], 0
	s_cselect_b32 s5, s21, s5
	s_cselect_b32 s4, s20, s4
	s_and_b64 s[14:15], s[4:5], s[18:19]
	s_mul_i32 s15, s15, 24
	s_mul_hi_u32 s18, s14, 24
	s_mul_i32 s14, s14, 24
	s_add_i32 s15, s18, s15
	v_mov_b32_e32 v3, s15
	s_waitcnt vmcnt(0)
	v_add_co_u32_e32 v2, vcc, s14, v8
	v_addc_co_u32_e32 v3, vcc, v9, v3, vcc
	v_mov_b32_e32 v10, s4
	global_store_dwordx2 v[2:3], v[12:13], off
	v_mov_b32_e32 v11, s5
	s_waitcnt vmcnt(0)
	global_atomic_cmpswap_x2 v[10:11], v26, v[10:13], s[6:7] offset:24 glc
	s_waitcnt vmcnt(0)
	v_cmp_ne_u64_e32 vcc, v[10:11], v[12:13]
	s_and_b64 exec, exec, vcc
	s_cbranch_execz .LBB6_2446
; %bb.2527:                             ;   in Loop: Header=BB6_2447 Depth=1
	s_mov_b64 s[14:15], 0
.LBB6_2528:                             ;   Parent Loop BB6_2447 Depth=1
                                        ; =>  This Inner Loop Header: Depth=2
	s_sleep 1
	global_store_dwordx2 v[2:3], v[10:11], off
	v_mov_b32_e32 v8, s4
	v_mov_b32_e32 v9, s5
	s_waitcnt vmcnt(0)
	global_atomic_cmpswap_x2 v[8:9], v26, v[8:11], s[6:7] offset:24 glc
	s_waitcnt vmcnt(0)
	v_cmp_eq_u64_e32 vcc, v[8:9], v[10:11]
	v_mov_b32_e32 v11, v9
	s_or_b64 s[14:15], vcc, s[14:15]
	v_mov_b32_e32 v10, v8
	s_andn2_b64 exec, exec, s[14:15]
	s_cbranch_execnz .LBB6_2528
	s_branch .LBB6_2446
.LBB6_2529:
	s_mov_b64 s[4:5], 0
	s_branch .LBB6_2531
.LBB6_2530:
	s_mov_b64 s[4:5], -1
.LBB6_2531:
	s_and_b64 vcc, exec, s[4:5]
	s_cbranch_vccz .LBB6_2558
; %bb.2532:
	v_readfirstlane_b32 s4, v30
	s_waitcnt vmcnt(0)
	v_mov_b32_e32 v8, 0
	v_mov_b32_e32 v9, 0
	v_cmp_eq_u32_e64 s[4:5], s4, v30
	s_and_saveexec_b64 s[8:9], s[4:5]
	s_cbranch_execz .LBB6_2538
; %bb.2533:
	v_mov_b32_e32 v2, 0
	global_load_dwordx2 v[5:6], v2, s[6:7] offset:24 glc
	s_waitcnt vmcnt(0)
	buffer_wbinvl1_vol
	global_load_dwordx2 v[3:4], v2, s[6:7] offset:40
	global_load_dwordx2 v[7:8], v2, s[6:7]
	s_waitcnt vmcnt(1)
	v_and_b32_e32 v3, v3, v5
	v_and_b32_e32 v4, v4, v6
	v_mul_lo_u32 v4, v4, 24
	v_mul_hi_u32 v9, v3, 24
	v_mul_lo_u32 v3, v3, 24
	v_add_u32_e32 v4, v9, v4
	s_waitcnt vmcnt(0)
	v_add_co_u32_e32 v3, vcc, v7, v3
	v_addc_co_u32_e32 v4, vcc, v8, v4, vcc
	global_load_dwordx2 v[3:4], v[3:4], off glc
	s_waitcnt vmcnt(0)
	global_atomic_cmpswap_x2 v[8:9], v2, v[3:6], s[6:7] offset:24 glc
	s_waitcnt vmcnt(0)
	buffer_wbinvl1_vol
	v_cmp_ne_u64_e32 vcc, v[8:9], v[5:6]
	s_and_saveexec_b64 s[10:11], vcc
	s_cbranch_execz .LBB6_2537
; %bb.2534:
	s_mov_b64 s[12:13], 0
.LBB6_2535:                             ; =>This Inner Loop Header: Depth=1
	s_sleep 1
	global_load_dwordx2 v[3:4], v2, s[6:7] offset:40
	global_load_dwordx2 v[10:11], v2, s[6:7]
	v_mov_b32_e32 v5, v8
	v_mov_b32_e32 v6, v9
	s_waitcnt vmcnt(1)
	v_and_b32_e32 v3, v3, v5
	s_waitcnt vmcnt(0)
	v_mad_u64_u32 v[7:8], s[14:15], v3, 24, v[10:11]
	v_and_b32_e32 v4, v4, v6
	v_mov_b32_e32 v3, v8
	v_mad_u64_u32 v[3:4], s[14:15], v4, 24, v[3:4]
	v_mov_b32_e32 v8, v3
	global_load_dwordx2 v[3:4], v[7:8], off glc
	s_waitcnt vmcnt(0)
	global_atomic_cmpswap_x2 v[8:9], v2, v[3:6], s[6:7] offset:24 glc
	s_waitcnt vmcnt(0)
	buffer_wbinvl1_vol
	v_cmp_eq_u64_e32 vcc, v[8:9], v[5:6]
	s_or_b64 s[12:13], vcc, s[12:13]
	s_andn2_b64 exec, exec, s[12:13]
	s_cbranch_execnz .LBB6_2535
; %bb.2536:
	s_or_b64 exec, exec, s[12:13]
.LBB6_2537:
	s_or_b64 exec, exec, s[10:11]
.LBB6_2538:
	s_or_b64 exec, exec, s[8:9]
	v_mov_b32_e32 v2, 0
	global_load_dwordx2 v[10:11], v2, s[6:7] offset:40
	global_load_dwordx4 v[4:7], v2, s[6:7]
	v_readfirstlane_b32 s9, v9
	v_readfirstlane_b32 s8, v8
	s_mov_b64 s[10:11], exec
	s_waitcnt vmcnt(1)
	v_readfirstlane_b32 s12, v10
	v_readfirstlane_b32 s13, v11
	s_and_b64 s[12:13], s[12:13], s[8:9]
	s_mul_i32 s14, s13, 24
	s_mul_hi_u32 s15, s12, 24
	s_mul_i32 s16, s12, 24
	s_add_i32 s14, s15, s14
	v_mov_b32_e32 v3, s14
	s_waitcnt vmcnt(0)
	v_add_co_u32_e32 v8, vcc, s16, v4
	v_addc_co_u32_e32 v9, vcc, v5, v3, vcc
	s_and_saveexec_b64 s[14:15], s[4:5]
	s_cbranch_execz .LBB6_2540
; %bb.2539:
	v_mov_b32_e32 v10, s10
	v_mov_b32_e32 v11, s11
	;; [unrolled: 1-line block ×4, first 2 shown]
	global_store_dwordx4 v[8:9], v[10:13], off offset:8
.LBB6_2540:
	s_or_b64 exec, exec, s[14:15]
	s_lshl_b64 s[10:11], s[12:13], 12
	v_mov_b32_e32 v3, s11
	v_add_co_u32_e32 v6, vcc, s10, v6
	v_addc_co_u32_e32 v7, vcc, v7, v3, vcc
	s_movk_i32 s10, 0xff1d
	v_and_or_b32 v0, v0, s10, 34
	s_mov_b32 s12, 0
	v_mov_b32_e32 v3, v2
	v_readfirstlane_b32 s10, v6
	v_readfirstlane_b32 s11, v7
	s_mov_b32 s13, s12
	s_mov_b32 s14, s12
	;; [unrolled: 1-line block ×3, first 2 shown]
	s_nop 1
	global_store_dwordx4 v29, v[0:3], s[10:11]
	s_nop 0
	v_mov_b32_e32 v0, s12
	v_mov_b32_e32 v1, s13
	;; [unrolled: 1-line block ×4, first 2 shown]
	global_store_dwordx4 v29, v[0:3], s[10:11] offset:16
	global_store_dwordx4 v29, v[0:3], s[10:11] offset:32
	;; [unrolled: 1-line block ×3, first 2 shown]
	s_and_saveexec_b64 s[10:11], s[4:5]
	s_cbranch_execz .LBB6_2548
; %bb.2541:
	v_mov_b32_e32 v6, 0
	global_load_dwordx2 v[12:13], v6, s[6:7] offset:32 glc
	global_load_dwordx2 v[0:1], v6, s[6:7] offset:40
	v_mov_b32_e32 v10, s8
	v_mov_b32_e32 v11, s9
	s_waitcnt vmcnt(0)
	v_readfirstlane_b32 s12, v0
	v_readfirstlane_b32 s13, v1
	s_and_b64 s[12:13], s[12:13], s[8:9]
	s_mul_i32 s13, s13, 24
	s_mul_hi_u32 s14, s12, 24
	s_mul_i32 s12, s12, 24
	s_add_i32 s13, s14, s13
	v_mov_b32_e32 v0, s13
	v_add_co_u32_e32 v4, vcc, s12, v4
	v_addc_co_u32_e32 v5, vcc, v5, v0, vcc
	global_store_dwordx2 v[4:5], v[12:13], off
	s_waitcnt vmcnt(0)
	global_atomic_cmpswap_x2 v[2:3], v6, v[10:13], s[6:7] offset:32 glc
	s_waitcnt vmcnt(0)
	v_cmp_ne_u64_e32 vcc, v[2:3], v[12:13]
	s_and_saveexec_b64 s[12:13], vcc
	s_cbranch_execz .LBB6_2544
; %bb.2542:
	s_mov_b64 s[14:15], 0
.LBB6_2543:                             ; =>This Inner Loop Header: Depth=1
	s_sleep 1
	global_store_dwordx2 v[4:5], v[2:3], off
	v_mov_b32_e32 v0, s8
	v_mov_b32_e32 v1, s9
	s_waitcnt vmcnt(0)
	global_atomic_cmpswap_x2 v[0:1], v6, v[0:3], s[6:7] offset:32 glc
	s_waitcnt vmcnt(0)
	v_cmp_eq_u64_e32 vcc, v[0:1], v[2:3]
	v_mov_b32_e32 v3, v1
	s_or_b64 s[14:15], vcc, s[14:15]
	v_mov_b32_e32 v2, v0
	s_andn2_b64 exec, exec, s[14:15]
	s_cbranch_execnz .LBB6_2543
.LBB6_2544:
	s_or_b64 exec, exec, s[12:13]
	v_mov_b32_e32 v3, 0
	global_load_dwordx2 v[0:1], v3, s[6:7] offset:16
	s_mov_b64 s[12:13], exec
	v_mbcnt_lo_u32_b32 v2, s12, 0
	v_mbcnt_hi_u32_b32 v2, s13, v2
	v_cmp_eq_u32_e32 vcc, 0, v2
	s_and_saveexec_b64 s[14:15], vcc
	s_cbranch_execz .LBB6_2546
; %bb.2545:
	s_bcnt1_i32_b64 s12, s[12:13]
	v_mov_b32_e32 v2, s12
	s_waitcnt vmcnt(0)
	global_atomic_add_x2 v[0:1], v[2:3], off offset:8
.LBB6_2546:
	s_or_b64 exec, exec, s[14:15]
	s_waitcnt vmcnt(0)
	global_load_dwordx2 v[2:3], v[0:1], off offset:16
	s_waitcnt vmcnt(0)
	v_cmp_eq_u64_e32 vcc, 0, v[2:3]
	s_cbranch_vccnz .LBB6_2548
; %bb.2547:
	global_load_dword v0, v[0:1], off offset:24
	v_mov_b32_e32 v1, 0
	s_waitcnt vmcnt(0)
	v_readfirstlane_b32 s12, v0
	s_and_b32 m0, s12, 0xffffff
	global_store_dwordx2 v[2:3], v[0:1], off
	s_sendmsg sendmsg(MSG_INTERRUPT)
.LBB6_2548:
	s_or_b64 exec, exec, s[10:11]
	s_branch .LBB6_2552
.LBB6_2549:                             ;   in Loop: Header=BB6_2552 Depth=1
	s_or_b64 exec, exec, s[10:11]
	v_readfirstlane_b32 s10, v0
	s_cmp_eq_u32 s10, 0
	s_cbranch_scc1 .LBB6_2551
; %bb.2550:                             ;   in Loop: Header=BB6_2552 Depth=1
	s_sleep 1
	s_cbranch_execnz .LBB6_2552
	s_branch .LBB6_2554
.LBB6_2551:
	s_branch .LBB6_2554
.LBB6_2552:                             ; =>This Inner Loop Header: Depth=1
	v_mov_b32_e32 v0, 1
	s_and_saveexec_b64 s[10:11], s[4:5]
	s_cbranch_execz .LBB6_2549
; %bb.2553:                             ;   in Loop: Header=BB6_2552 Depth=1
	global_load_dword v0, v[8:9], off offset:20 glc
	s_waitcnt vmcnt(0)
	buffer_wbinvl1_vol
	v_and_b32_e32 v0, 1, v0
	s_branch .LBB6_2549
.LBB6_2554:
	s_and_saveexec_b64 s[10:11], s[4:5]
	s_cbranch_execz .LBB6_2557
; %bb.2555:
	v_mov_b32_e32 v6, 0
	global_load_dwordx2 v[0:1], v6, s[6:7] offset:40
	global_load_dwordx2 v[9:10], v6, s[6:7] offset:24 glc
	global_load_dwordx2 v[2:3], v6, s[6:7]
	s_waitcnt vmcnt(2)
	v_readfirstlane_b32 s12, v0
	v_readfirstlane_b32 s13, v1
	s_add_u32 s14, s12, 1
	s_addc_u32 s15, s13, 0
	s_add_u32 s4, s14, s8
	s_addc_u32 s5, s15, s9
	s_cmp_eq_u64 s[4:5], 0
	s_cselect_b32 s5, s15, s5
	s_cselect_b32 s4, s14, s4
	s_and_b64 s[8:9], s[4:5], s[12:13]
	s_mul_i32 s9, s9, 24
	s_mul_hi_u32 s12, s8, 24
	s_mul_i32 s8, s8, 24
	s_add_i32 s9, s12, s9
	v_mov_b32_e32 v0, s9
	s_waitcnt vmcnt(0)
	v_add_co_u32_e32 v4, vcc, s8, v2
	v_addc_co_u32_e32 v5, vcc, v3, v0, vcc
	v_mov_b32_e32 v7, s4
	global_store_dwordx2 v[4:5], v[9:10], off
	v_mov_b32_e32 v8, s5
	s_waitcnt vmcnt(0)
	global_atomic_cmpswap_x2 v[2:3], v6, v[7:10], s[6:7] offset:24 glc
	s_mov_b64 s[8:9], 0
	s_waitcnt vmcnt(0)
	v_cmp_ne_u64_e32 vcc, v[2:3], v[9:10]
	s_and_b64 exec, exec, vcc
	s_cbranch_execz .LBB6_2557
.LBB6_2556:                             ; =>This Inner Loop Header: Depth=1
	s_sleep 1
	global_store_dwordx2 v[4:5], v[2:3], off
	v_mov_b32_e32 v0, s4
	v_mov_b32_e32 v1, s5
	s_waitcnt vmcnt(0)
	global_atomic_cmpswap_x2 v[0:1], v6, v[0:3], s[6:7] offset:24 glc
	s_waitcnt vmcnt(0)
	v_cmp_eq_u64_e32 vcc, v[0:1], v[2:3]
	v_mov_b32_e32 v3, v1
	s_or_b64 s[8:9], vcc, s[8:9]
	v_mov_b32_e32 v2, v0
	s_andn2_b64 exec, exec, s[8:9]
	s_cbranch_execnz .LBB6_2556
.LBB6_2557:
	s_or_b64 exec, exec, s[10:11]
.LBB6_2558:
	s_getpc_b64 s[4:5]
	s_add_u32 s4, s4, .str.29@rel32@lo+4
	s_addc_u32 s5, s5, .str.29@rel32@hi+12
	s_getpc_b64 s[6:7]
	s_add_u32 s6, s6, .str.19@rel32@lo+4
	s_addc_u32 s7, s7, .str.19@rel32@hi+12
	s_getpc_b64 s[10:11]
	s_add_u32 s10, s10, __PRETTY_FUNCTION__._ZN7VecsMemIjLi8192EE5fetchEi@rel32@lo+4
	s_addc_u32 s11, s11, __PRETTY_FUNCTION__._ZN7VecsMemIjLi8192EE5fetchEi@rel32@hi+12
	s_getpc_b64 s[12:13]
	s_add_u32 s12, s12, __assert_fail@rel32@lo+4
	s_addc_u32 s13, s13, __assert_fail@rel32@hi+12
	s_mov_b64 s[8:9], s[64:65]
	s_waitcnt vmcnt(0)
	v_mov_b32_e32 v0, s4
	v_mov_b32_e32 v1, s5
	;; [unrolled: 1-line block ×7, first 2 shown]
	s_swappc_b64 s[30:31], s[12:13]
	s_or_b64 s[56:57], s[56:57], exec
.LBB6_2559:
	s_or_b64 exec, exec, s[26:27]
	s_andn2_b64 s[4:5], s[40:41], exec
	s_and_b64 s[6:7], s[56:57], exec
	s_or_b64 s[40:41], s[4:5], s[6:7]
.LBB6_2560:
	s_or_b64 exec, exec, s[72:73]
	s_andn2_b64 s[4:5], s[28:29], exec
	s_and_b64 s[6:7], s[40:41], exec
	s_or_b64 s[28:29], s[4:5], s[6:7]
.LBB6_2561:
	s_or_b64 exec, exec, s[62:63]
	s_and_saveexec_b64 s[4:5], s[46:47]
	s_xor_b64 s[26:27], exec, s[4:5]
	s_cbranch_execz .LBB6_2702
; %bb.2562:
	s_load_dwordx2 s[6:7], s[64:65], 0x50
	v_mbcnt_lo_u32_b32 v0, -1, 0
	v_mbcnt_hi_u32_b32 v30, -1, v0
	v_readfirstlane_b32 s4, v30
	v_mov_b32_e32 v5, 0
	v_mov_b32_e32 v6, 0
	v_cmp_eq_u32_e64 s[4:5], s4, v30
	s_and_saveexec_b64 s[8:9], s[4:5]
	s_cbranch_execz .LBB6_2568
; %bb.2563:
	v_mov_b32_e32 v0, 0
	s_waitcnt lgkmcnt(0)
	global_load_dwordx2 v[3:4], v0, s[6:7] offset:24 glc
	s_waitcnt vmcnt(0)
	buffer_wbinvl1_vol
	global_load_dwordx2 v[1:2], v0, s[6:7] offset:40
	global_load_dwordx2 v[5:6], v0, s[6:7]
	s_waitcnt vmcnt(1)
	v_and_b32_e32 v1, v1, v3
	v_and_b32_e32 v2, v2, v4
	v_mul_lo_u32 v2, v2, 24
	v_mul_hi_u32 v7, v1, 24
	v_mul_lo_u32 v1, v1, 24
	v_add_u32_e32 v2, v7, v2
	s_waitcnt vmcnt(0)
	v_add_co_u32_e32 v1, vcc, v5, v1
	v_addc_co_u32_e32 v2, vcc, v6, v2, vcc
	global_load_dwordx2 v[1:2], v[1:2], off glc
	s_waitcnt vmcnt(0)
	global_atomic_cmpswap_x2 v[5:6], v0, v[1:4], s[6:7] offset:24 glc
	s_waitcnt vmcnt(0)
	buffer_wbinvl1_vol
	v_cmp_ne_u64_e32 vcc, v[5:6], v[3:4]
	s_and_saveexec_b64 s[10:11], vcc
	s_cbranch_execz .LBB6_2567
; %bb.2564:
	s_mov_b64 s[12:13], 0
.LBB6_2565:                             ; =>This Inner Loop Header: Depth=1
	s_sleep 1
	global_load_dwordx2 v[1:2], v0, s[6:7] offset:40
	global_load_dwordx2 v[7:8], v0, s[6:7]
	v_mov_b32_e32 v3, v5
	v_mov_b32_e32 v4, v6
	s_waitcnt vmcnt(1)
	v_and_b32_e32 v1, v1, v3
	s_waitcnt vmcnt(0)
	v_mad_u64_u32 v[5:6], s[14:15], v1, 24, v[7:8]
	v_and_b32_e32 v2, v2, v4
	v_mov_b32_e32 v1, v6
	v_mad_u64_u32 v[1:2], s[14:15], v2, 24, v[1:2]
	v_mov_b32_e32 v6, v1
	global_load_dwordx2 v[1:2], v[5:6], off glc
	s_waitcnt vmcnt(0)
	global_atomic_cmpswap_x2 v[5:6], v0, v[1:4], s[6:7] offset:24 glc
	s_waitcnt vmcnt(0)
	buffer_wbinvl1_vol
	v_cmp_eq_u64_e32 vcc, v[5:6], v[3:4]
	s_or_b64 s[12:13], vcc, s[12:13]
	s_andn2_b64 exec, exec, s[12:13]
	s_cbranch_execnz .LBB6_2565
; %bb.2566:
	s_or_b64 exec, exec, s[12:13]
.LBB6_2567:
	s_or_b64 exec, exec, s[10:11]
.LBB6_2568:
	s_or_b64 exec, exec, s[8:9]
	v_mov_b32_e32 v4, 0
	s_waitcnt lgkmcnt(0)
	global_load_dwordx2 v[7:8], v4, s[6:7] offset:40
	global_load_dwordx4 v[0:3], v4, s[6:7]
	v_readfirstlane_b32 s9, v6
	v_readfirstlane_b32 s8, v5
	s_mov_b64 s[10:11], exec
	s_waitcnt vmcnt(0)
	v_readfirstlane_b32 s12, v7
	v_readfirstlane_b32 s13, v8
	s_and_b64 s[12:13], s[12:13], s[8:9]
	s_mul_i32 s14, s13, 24
	s_mul_hi_u32 s15, s12, 24
	s_mul_i32 s16, s12, 24
	s_add_i32 s14, s15, s14
	v_mov_b32_e32 v5, s14
	v_add_co_u32_e32 v7, vcc, s16, v0
	v_addc_co_u32_e32 v8, vcc, v1, v5, vcc
	s_and_saveexec_b64 s[14:15], s[4:5]
	s_cbranch_execz .LBB6_2570
; %bb.2569:
	v_mov_b32_e32 v9, s10
	v_mov_b32_e32 v10, s11
	;; [unrolled: 1-line block ×4, first 2 shown]
	global_store_dwordx4 v[7:8], v[9:12], off offset:8
.LBB6_2570:
	s_or_b64 exec, exec, s[14:15]
	s_lshl_b64 s[10:11], s[12:13], 12
	v_mov_b32_e32 v5, s11
	v_add_co_u32_e32 v2, vcc, s10, v2
	v_addc_co_u32_e32 v11, vcc, v3, v5, vcc
	v_lshlrev_b32_e32 v29, 6, v30
	s_mov_b32 s12, 0
	v_mov_b32_e32 v3, 33
	v_mov_b32_e32 v5, v4
	;; [unrolled: 1-line block ×3, first 2 shown]
	v_readfirstlane_b32 s10, v2
	v_readfirstlane_b32 s11, v11
	v_add_co_u32_e32 v9, vcc, v2, v29
	s_mov_b32 s13, s12
	s_mov_b32 s14, s12
	;; [unrolled: 1-line block ×3, first 2 shown]
	s_nop 0
	global_store_dwordx4 v29, v[3:6], s[10:11]
	v_mov_b32_e32 v2, s12
	v_addc_co_u32_e32 v10, vcc, 0, v11, vcc
	v_mov_b32_e32 v3, s13
	v_mov_b32_e32 v4, s14
	;; [unrolled: 1-line block ×3, first 2 shown]
	global_store_dwordx4 v29, v[2:5], s[10:11] offset:16
	global_store_dwordx4 v29, v[2:5], s[10:11] offset:32
	global_store_dwordx4 v29, v[2:5], s[10:11] offset:48
	s_and_saveexec_b64 s[10:11], s[4:5]
	s_cbranch_execz .LBB6_2578
; %bb.2571:
	v_mov_b32_e32 v6, 0
	global_load_dwordx2 v[13:14], v6, s[6:7] offset:32 glc
	global_load_dwordx2 v[2:3], v6, s[6:7] offset:40
	v_mov_b32_e32 v11, s8
	v_mov_b32_e32 v12, s9
	s_waitcnt vmcnt(0)
	v_and_b32_e32 v2, s8, v2
	v_and_b32_e32 v3, s9, v3
	v_mul_lo_u32 v3, v3, 24
	v_mul_hi_u32 v4, v2, 24
	v_mul_lo_u32 v2, v2, 24
	v_add_u32_e32 v3, v4, v3
	v_add_co_u32_e32 v4, vcc, v0, v2
	v_addc_co_u32_e32 v5, vcc, v1, v3, vcc
	global_store_dwordx2 v[4:5], v[13:14], off
	s_waitcnt vmcnt(0)
	global_atomic_cmpswap_x2 v[2:3], v6, v[11:14], s[6:7] offset:32 glc
	s_waitcnt vmcnt(0)
	v_cmp_ne_u64_e32 vcc, v[2:3], v[13:14]
	s_and_saveexec_b64 s[12:13], vcc
	s_cbranch_execz .LBB6_2574
; %bb.2572:
	s_mov_b64 s[14:15], 0
.LBB6_2573:                             ; =>This Inner Loop Header: Depth=1
	s_sleep 1
	global_store_dwordx2 v[4:5], v[2:3], off
	v_mov_b32_e32 v0, s8
	v_mov_b32_e32 v1, s9
	s_waitcnt vmcnt(0)
	global_atomic_cmpswap_x2 v[0:1], v6, v[0:3], s[6:7] offset:32 glc
	s_waitcnt vmcnt(0)
	v_cmp_eq_u64_e32 vcc, v[0:1], v[2:3]
	v_mov_b32_e32 v3, v1
	s_or_b64 s[14:15], vcc, s[14:15]
	v_mov_b32_e32 v2, v0
	s_andn2_b64 exec, exec, s[14:15]
	s_cbranch_execnz .LBB6_2573
.LBB6_2574:
	s_or_b64 exec, exec, s[12:13]
	v_mov_b32_e32 v3, 0
	global_load_dwordx2 v[0:1], v3, s[6:7] offset:16
	s_mov_b64 s[12:13], exec
	v_mbcnt_lo_u32_b32 v2, s12, 0
	v_mbcnt_hi_u32_b32 v2, s13, v2
	v_cmp_eq_u32_e32 vcc, 0, v2
	s_and_saveexec_b64 s[14:15], vcc
	s_cbranch_execz .LBB6_2576
; %bb.2575:
	s_bcnt1_i32_b64 s12, s[12:13]
	v_mov_b32_e32 v2, s12
	s_waitcnt vmcnt(0)
	global_atomic_add_x2 v[0:1], v[2:3], off offset:8
.LBB6_2576:
	s_or_b64 exec, exec, s[14:15]
	s_waitcnt vmcnt(0)
	global_load_dwordx2 v[2:3], v[0:1], off offset:16
	s_waitcnt vmcnt(0)
	v_cmp_eq_u64_e32 vcc, 0, v[2:3]
	s_cbranch_vccnz .LBB6_2578
; %bb.2577:
	global_load_dword v0, v[0:1], off offset:24
	v_mov_b32_e32 v1, 0
	s_waitcnt vmcnt(0)
	v_readfirstlane_b32 s12, v0
	s_and_b32 m0, s12, 0xffffff
	global_store_dwordx2 v[2:3], v[0:1], off
	s_sendmsg sendmsg(MSG_INTERRUPT)
.LBB6_2578:
	s_or_b64 exec, exec, s[10:11]
	s_branch .LBB6_2582
.LBB6_2579:                             ;   in Loop: Header=BB6_2582 Depth=1
	s_or_b64 exec, exec, s[10:11]
	v_readfirstlane_b32 s10, v0
	s_cmp_eq_u32 s10, 0
	s_cbranch_scc1 .LBB6_2581
; %bb.2580:                             ;   in Loop: Header=BB6_2582 Depth=1
	s_sleep 1
	s_cbranch_execnz .LBB6_2582
	s_branch .LBB6_2584
.LBB6_2581:
	s_branch .LBB6_2584
.LBB6_2582:                             ; =>This Inner Loop Header: Depth=1
	v_mov_b32_e32 v0, 1
	s_and_saveexec_b64 s[10:11], s[4:5]
	s_cbranch_execz .LBB6_2579
; %bb.2583:                             ;   in Loop: Header=BB6_2582 Depth=1
	global_load_dword v0, v[7:8], off offset:20 glc
	s_waitcnt vmcnt(0)
	buffer_wbinvl1_vol
	v_and_b32_e32 v0, 1, v0
	s_branch .LBB6_2579
.LBB6_2584:
	global_load_dwordx2 v[0:1], v[9:10], off
	s_and_saveexec_b64 s[10:11], s[4:5]
	s_cbranch_execz .LBB6_2587
; %bb.2585:
	v_mov_b32_e32 v8, 0
	global_load_dwordx2 v[2:3], v8, s[6:7] offset:40
	global_load_dwordx2 v[11:12], v8, s[6:7] offset:24 glc
	global_load_dwordx2 v[4:5], v8, s[6:7]
	s_waitcnt vmcnt(2)
	v_readfirstlane_b32 s12, v2
	v_readfirstlane_b32 s13, v3
	s_add_u32 s14, s12, 1
	s_addc_u32 s15, s13, 0
	s_add_u32 s4, s14, s8
	s_addc_u32 s5, s15, s9
	s_cmp_eq_u64 s[4:5], 0
	s_cselect_b32 s5, s15, s5
	s_cselect_b32 s4, s14, s4
	s_and_b64 s[8:9], s[4:5], s[12:13]
	s_mul_i32 s9, s9, 24
	s_mul_hi_u32 s12, s8, 24
	s_mul_i32 s8, s8, 24
	s_add_i32 s9, s12, s9
	v_mov_b32_e32 v2, s9
	s_waitcnt vmcnt(0)
	v_add_co_u32_e32 v6, vcc, s8, v4
	v_addc_co_u32_e32 v7, vcc, v5, v2, vcc
	v_mov_b32_e32 v9, s4
	global_store_dwordx2 v[6:7], v[11:12], off
	v_mov_b32_e32 v10, s5
	s_waitcnt vmcnt(0)
	global_atomic_cmpswap_x2 v[4:5], v8, v[9:12], s[6:7] offset:24 glc
	s_mov_b64 s[8:9], 0
	s_waitcnt vmcnt(0)
	v_cmp_ne_u64_e32 vcc, v[4:5], v[11:12]
	s_and_b64 exec, exec, vcc
	s_cbranch_execz .LBB6_2587
.LBB6_2586:                             ; =>This Inner Loop Header: Depth=1
	s_sleep 1
	global_store_dwordx2 v[6:7], v[4:5], off
	v_mov_b32_e32 v2, s4
	v_mov_b32_e32 v3, s5
	s_waitcnt vmcnt(0)
	global_atomic_cmpswap_x2 v[2:3], v8, v[2:5], s[6:7] offset:24 glc
	s_waitcnt vmcnt(0)
	v_cmp_eq_u64_e32 vcc, v[2:3], v[4:5]
	v_mov_b32_e32 v5, v3
	s_or_b64 s[8:9], vcc, s[8:9]
	v_mov_b32_e32 v4, v2
	s_andn2_b64 exec, exec, s[8:9]
	s_cbranch_execnz .LBB6_2586
.LBB6_2587:
	s_or_b64 exec, exec, s[10:11]
	s_getpc_b64 s[8:9]
	s_add_u32 s8, s8, .str.28@rel32@lo+4
	s_addc_u32 s9, s9, .str.28@rel32@hi+12
	s_cmp_lg_u64 s[8:9], 0
	s_cbranch_scc0 .LBB6_2673
; %bb.2588:
	s_waitcnt vmcnt(0)
	v_and_b32_e32 v6, -3, v0
	v_mov_b32_e32 v7, v1
	s_mov_b64 s[10:11], 35
	v_mov_b32_e32 v26, 0
	v_mov_b32_e32 v4, 2
	;; [unrolled: 1-line block ×3, first 2 shown]
	s_branch .LBB6_2590
.LBB6_2589:                             ;   in Loop: Header=BB6_2590 Depth=1
	s_or_b64 exec, exec, s[16:17]
	s_sub_u32 s10, s10, s12
	s_subb_u32 s11, s11, s13
	s_add_u32 s8, s8, s12
	s_addc_u32 s9, s9, s13
	s_cmp_lg_u64 s[10:11], 0
	s_cbranch_scc0 .LBB6_2672
.LBB6_2590:                             ; =>This Loop Header: Depth=1
                                        ;     Child Loop BB6_2593 Depth 2
                                        ;     Child Loop BB6_2601 Depth 2
	;; [unrolled: 1-line block ×11, first 2 shown]
	v_cmp_lt_u64_e64 s[4:5], s[10:11], 56
	v_cmp_gt_u64_e64 s[14:15], s[10:11], 7
	s_and_b64 s[4:5], s[4:5], exec
	s_cselect_b32 s13, s11, 0
	s_cselect_b32 s12, s10, 56
	s_add_u32 s4, s8, 8
	s_addc_u32 s5, s9, 0
	s_and_b64 vcc, exec, s[14:15]
	s_cbranch_vccnz .LBB6_2594
; %bb.2591:                             ;   in Loop: Header=BB6_2590 Depth=1
	s_cmp_eq_u64 s[10:11], 0
	s_cbranch_scc1 .LBB6_2595
; %bb.2592:                             ;   in Loop: Header=BB6_2590 Depth=1
	s_waitcnt vmcnt(0)
	v_mov_b32_e32 v8, 0
	s_lshl_b64 s[4:5], s[12:13], 3
	s_mov_b64 s[14:15], 0
	v_mov_b32_e32 v9, 0
	s_mov_b64 s[16:17], s[8:9]
.LBB6_2593:                             ;   Parent Loop BB6_2590 Depth=1
                                        ; =>  This Inner Loop Header: Depth=2
	global_load_ubyte v2, v26, s[16:17]
	s_waitcnt vmcnt(0)
	v_and_b32_e32 v25, 0xffff, v2
	v_lshlrev_b64 v[2:3], s14, v[25:26]
	s_add_u32 s14, s14, 8
	s_addc_u32 s15, s15, 0
	s_add_u32 s16, s16, 1
	s_addc_u32 s17, s17, 0
	v_or_b32_e32 v8, v2, v8
	s_cmp_lg_u32 s4, s14
	v_or_b32_e32 v9, v3, v9
	s_cbranch_scc1 .LBB6_2593
	s_branch .LBB6_2596
.LBB6_2594:                             ;   in Loop: Header=BB6_2590 Depth=1
	s_mov_b32 s18, 0
	s_branch .LBB6_2597
.LBB6_2595:                             ;   in Loop: Header=BB6_2590 Depth=1
	s_waitcnt vmcnt(0)
	v_mov_b32_e32 v8, 0
	v_mov_b32_e32 v9, 0
.LBB6_2596:                             ;   in Loop: Header=BB6_2590 Depth=1
	s_mov_b64 s[4:5], s[8:9]
	s_mov_b32 s18, 0
	s_cbranch_execnz .LBB6_2598
.LBB6_2597:                             ;   in Loop: Header=BB6_2590 Depth=1
	global_load_dwordx2 v[8:9], v26, s[8:9]
	s_add_i32 s18, s12, -8
.LBB6_2598:                             ;   in Loop: Header=BB6_2590 Depth=1
	s_add_u32 s14, s4, 8
	s_addc_u32 s15, s5, 0
	s_cmp_gt_u32 s18, 7
	s_cbranch_scc1 .LBB6_2602
; %bb.2599:                             ;   in Loop: Header=BB6_2590 Depth=1
	s_cmp_eq_u32 s18, 0
	s_cbranch_scc1 .LBB6_2603
; %bb.2600:                             ;   in Loop: Header=BB6_2590 Depth=1
	v_mov_b32_e32 v10, 0
	s_mov_b64 s[14:15], 0
	v_mov_b32_e32 v11, 0
	s_mov_b64 s[16:17], 0
.LBB6_2601:                             ;   Parent Loop BB6_2590 Depth=1
                                        ; =>  This Inner Loop Header: Depth=2
	s_add_u32 s20, s4, s16
	s_addc_u32 s21, s5, s17
	global_load_ubyte v2, v26, s[20:21]
	s_add_u32 s16, s16, 1
	s_addc_u32 s17, s17, 0
	s_waitcnt vmcnt(0)
	v_and_b32_e32 v25, 0xffff, v2
	v_lshlrev_b64 v[2:3], s14, v[25:26]
	s_add_u32 s14, s14, 8
	s_addc_u32 s15, s15, 0
	v_or_b32_e32 v10, v2, v10
	s_cmp_lg_u32 s18, s16
	v_or_b32_e32 v11, v3, v11
	s_cbranch_scc1 .LBB6_2601
	s_branch .LBB6_2604
.LBB6_2602:                             ;   in Loop: Header=BB6_2590 Depth=1
                                        ; implicit-def: $vgpr10_vgpr11
	s_mov_b32 s19, 0
	s_branch .LBB6_2605
.LBB6_2603:                             ;   in Loop: Header=BB6_2590 Depth=1
	v_mov_b32_e32 v10, 0
	v_mov_b32_e32 v11, 0
.LBB6_2604:                             ;   in Loop: Header=BB6_2590 Depth=1
	s_mov_b64 s[14:15], s[4:5]
	s_mov_b32 s19, 0
	s_cbranch_execnz .LBB6_2606
.LBB6_2605:                             ;   in Loop: Header=BB6_2590 Depth=1
	global_load_dwordx2 v[10:11], v26, s[4:5]
	s_add_i32 s19, s18, -8
.LBB6_2606:                             ;   in Loop: Header=BB6_2590 Depth=1
	s_add_u32 s4, s14, 8
	s_addc_u32 s5, s15, 0
	s_cmp_gt_u32 s19, 7
	s_cbranch_scc1 .LBB6_2610
; %bb.2607:                             ;   in Loop: Header=BB6_2590 Depth=1
	s_cmp_eq_u32 s19, 0
	s_cbranch_scc1 .LBB6_2611
; %bb.2608:                             ;   in Loop: Header=BB6_2590 Depth=1
	v_mov_b32_e32 v12, 0
	s_mov_b64 s[4:5], 0
	v_mov_b32_e32 v13, 0
	s_mov_b64 s[16:17], 0
.LBB6_2609:                             ;   Parent Loop BB6_2590 Depth=1
                                        ; =>  This Inner Loop Header: Depth=2
	s_add_u32 s20, s14, s16
	s_addc_u32 s21, s15, s17
	global_load_ubyte v2, v26, s[20:21]
	s_add_u32 s16, s16, 1
	s_addc_u32 s17, s17, 0
	s_waitcnt vmcnt(0)
	v_and_b32_e32 v25, 0xffff, v2
	v_lshlrev_b64 v[2:3], s4, v[25:26]
	s_add_u32 s4, s4, 8
	s_addc_u32 s5, s5, 0
	v_or_b32_e32 v12, v2, v12
	s_cmp_lg_u32 s19, s16
	v_or_b32_e32 v13, v3, v13
	s_cbranch_scc1 .LBB6_2609
	s_branch .LBB6_2612
.LBB6_2610:                             ;   in Loop: Header=BB6_2590 Depth=1
	s_mov_b32 s18, 0
	s_branch .LBB6_2613
.LBB6_2611:                             ;   in Loop: Header=BB6_2590 Depth=1
	v_mov_b32_e32 v12, 0
	v_mov_b32_e32 v13, 0
.LBB6_2612:                             ;   in Loop: Header=BB6_2590 Depth=1
	s_mov_b64 s[4:5], s[14:15]
	s_mov_b32 s18, 0
	s_cbranch_execnz .LBB6_2614
.LBB6_2613:                             ;   in Loop: Header=BB6_2590 Depth=1
	global_load_dwordx2 v[12:13], v26, s[14:15]
	s_add_i32 s18, s19, -8
.LBB6_2614:                             ;   in Loop: Header=BB6_2590 Depth=1
	s_add_u32 s14, s4, 8
	s_addc_u32 s15, s5, 0
	s_cmp_gt_u32 s18, 7
	s_cbranch_scc1 .LBB6_2618
; %bb.2615:                             ;   in Loop: Header=BB6_2590 Depth=1
	s_cmp_eq_u32 s18, 0
	s_cbranch_scc1 .LBB6_2619
; %bb.2616:                             ;   in Loop: Header=BB6_2590 Depth=1
	v_mov_b32_e32 v14, 0
	s_mov_b64 s[14:15], 0
	v_mov_b32_e32 v15, 0
	s_mov_b64 s[16:17], 0
.LBB6_2617:                             ;   Parent Loop BB6_2590 Depth=1
                                        ; =>  This Inner Loop Header: Depth=2
	s_add_u32 s20, s4, s16
	s_addc_u32 s21, s5, s17
	global_load_ubyte v2, v26, s[20:21]
	s_add_u32 s16, s16, 1
	s_addc_u32 s17, s17, 0
	s_waitcnt vmcnt(0)
	v_and_b32_e32 v25, 0xffff, v2
	v_lshlrev_b64 v[2:3], s14, v[25:26]
	s_add_u32 s14, s14, 8
	s_addc_u32 s15, s15, 0
	v_or_b32_e32 v14, v2, v14
	s_cmp_lg_u32 s18, s16
	v_or_b32_e32 v15, v3, v15
	s_cbranch_scc1 .LBB6_2617
	s_branch .LBB6_2620
.LBB6_2618:                             ;   in Loop: Header=BB6_2590 Depth=1
                                        ; implicit-def: $vgpr14_vgpr15
	s_mov_b32 s19, 0
	s_branch .LBB6_2621
.LBB6_2619:                             ;   in Loop: Header=BB6_2590 Depth=1
	v_mov_b32_e32 v14, 0
	v_mov_b32_e32 v15, 0
.LBB6_2620:                             ;   in Loop: Header=BB6_2590 Depth=1
	s_mov_b64 s[14:15], s[4:5]
	s_mov_b32 s19, 0
	s_cbranch_execnz .LBB6_2622
.LBB6_2621:                             ;   in Loop: Header=BB6_2590 Depth=1
	global_load_dwordx2 v[14:15], v26, s[4:5]
	s_add_i32 s19, s18, -8
.LBB6_2622:                             ;   in Loop: Header=BB6_2590 Depth=1
	s_add_u32 s4, s14, 8
	s_addc_u32 s5, s15, 0
	s_cmp_gt_u32 s19, 7
	s_cbranch_scc1 .LBB6_2626
; %bb.2623:                             ;   in Loop: Header=BB6_2590 Depth=1
	s_cmp_eq_u32 s19, 0
	s_cbranch_scc1 .LBB6_2627
; %bb.2624:                             ;   in Loop: Header=BB6_2590 Depth=1
	v_mov_b32_e32 v16, 0
	s_mov_b64 s[4:5], 0
	v_mov_b32_e32 v17, 0
	s_mov_b64 s[16:17], 0
.LBB6_2625:                             ;   Parent Loop BB6_2590 Depth=1
                                        ; =>  This Inner Loop Header: Depth=2
	s_add_u32 s20, s14, s16
	s_addc_u32 s21, s15, s17
	global_load_ubyte v2, v26, s[20:21]
	s_add_u32 s16, s16, 1
	s_addc_u32 s17, s17, 0
	s_waitcnt vmcnt(0)
	v_and_b32_e32 v25, 0xffff, v2
	v_lshlrev_b64 v[2:3], s4, v[25:26]
	s_add_u32 s4, s4, 8
	s_addc_u32 s5, s5, 0
	v_or_b32_e32 v16, v2, v16
	s_cmp_lg_u32 s19, s16
	v_or_b32_e32 v17, v3, v17
	s_cbranch_scc1 .LBB6_2625
	s_branch .LBB6_2628
.LBB6_2626:                             ;   in Loop: Header=BB6_2590 Depth=1
	s_mov_b32 s18, 0
	s_branch .LBB6_2629
.LBB6_2627:                             ;   in Loop: Header=BB6_2590 Depth=1
	v_mov_b32_e32 v16, 0
	v_mov_b32_e32 v17, 0
.LBB6_2628:                             ;   in Loop: Header=BB6_2590 Depth=1
	s_mov_b64 s[4:5], s[14:15]
	s_mov_b32 s18, 0
	s_cbranch_execnz .LBB6_2630
.LBB6_2629:                             ;   in Loop: Header=BB6_2590 Depth=1
	global_load_dwordx2 v[16:17], v26, s[14:15]
	s_add_i32 s18, s19, -8
.LBB6_2630:                             ;   in Loop: Header=BB6_2590 Depth=1
	s_add_u32 s14, s4, 8
	s_addc_u32 s15, s5, 0
	s_cmp_gt_u32 s18, 7
	s_cbranch_scc1 .LBB6_2634
; %bb.2631:                             ;   in Loop: Header=BB6_2590 Depth=1
	s_cmp_eq_u32 s18, 0
	s_cbranch_scc1 .LBB6_2635
; %bb.2632:                             ;   in Loop: Header=BB6_2590 Depth=1
	v_mov_b32_e32 v18, 0
	s_mov_b64 s[14:15], 0
	v_mov_b32_e32 v19, 0
	s_mov_b64 s[16:17], 0
.LBB6_2633:                             ;   Parent Loop BB6_2590 Depth=1
                                        ; =>  This Inner Loop Header: Depth=2
	s_add_u32 s20, s4, s16
	s_addc_u32 s21, s5, s17
	global_load_ubyte v2, v26, s[20:21]
	s_add_u32 s16, s16, 1
	s_addc_u32 s17, s17, 0
	s_waitcnt vmcnt(0)
	v_and_b32_e32 v25, 0xffff, v2
	v_lshlrev_b64 v[2:3], s14, v[25:26]
	s_add_u32 s14, s14, 8
	s_addc_u32 s15, s15, 0
	v_or_b32_e32 v18, v2, v18
	s_cmp_lg_u32 s18, s16
	v_or_b32_e32 v19, v3, v19
	s_cbranch_scc1 .LBB6_2633
	s_branch .LBB6_2636
.LBB6_2634:                             ;   in Loop: Header=BB6_2590 Depth=1
                                        ; implicit-def: $vgpr18_vgpr19
	s_mov_b32 s19, 0
	s_branch .LBB6_2637
.LBB6_2635:                             ;   in Loop: Header=BB6_2590 Depth=1
	v_mov_b32_e32 v18, 0
	v_mov_b32_e32 v19, 0
.LBB6_2636:                             ;   in Loop: Header=BB6_2590 Depth=1
	s_mov_b64 s[14:15], s[4:5]
	s_mov_b32 s19, 0
	s_cbranch_execnz .LBB6_2638
.LBB6_2637:                             ;   in Loop: Header=BB6_2590 Depth=1
	global_load_dwordx2 v[18:19], v26, s[4:5]
	s_add_i32 s19, s18, -8
.LBB6_2638:                             ;   in Loop: Header=BB6_2590 Depth=1
	s_cmp_gt_u32 s19, 7
	s_cbranch_scc1 .LBB6_2642
; %bb.2639:                             ;   in Loop: Header=BB6_2590 Depth=1
	s_cmp_eq_u32 s19, 0
	s_cbranch_scc1 .LBB6_2643
; %bb.2640:                             ;   in Loop: Header=BB6_2590 Depth=1
	v_mov_b32_e32 v20, 0
	s_mov_b64 s[4:5], 0
	v_mov_b32_e32 v21, 0
	s_mov_b64 s[16:17], s[14:15]
.LBB6_2641:                             ;   Parent Loop BB6_2590 Depth=1
                                        ; =>  This Inner Loop Header: Depth=2
	global_load_ubyte v2, v26, s[16:17]
	s_add_i32 s19, s19, -1
	s_waitcnt vmcnt(0)
	v_and_b32_e32 v25, 0xffff, v2
	v_lshlrev_b64 v[2:3], s4, v[25:26]
	s_add_u32 s4, s4, 8
	s_addc_u32 s5, s5, 0
	s_add_u32 s16, s16, 1
	s_addc_u32 s17, s17, 0
	v_or_b32_e32 v20, v2, v20
	s_cmp_lg_u32 s19, 0
	v_or_b32_e32 v21, v3, v21
	s_cbranch_scc1 .LBB6_2641
	s_branch .LBB6_2644
.LBB6_2642:                             ;   in Loop: Header=BB6_2590 Depth=1
	s_branch .LBB6_2645
.LBB6_2643:                             ;   in Loop: Header=BB6_2590 Depth=1
	v_mov_b32_e32 v20, 0
	v_mov_b32_e32 v21, 0
.LBB6_2644:                             ;   in Loop: Header=BB6_2590 Depth=1
	s_cbranch_execnz .LBB6_2646
.LBB6_2645:                             ;   in Loop: Header=BB6_2590 Depth=1
	global_load_dwordx2 v[20:21], v26, s[14:15]
.LBB6_2646:                             ;   in Loop: Header=BB6_2590 Depth=1
	v_readfirstlane_b32 s4, v30
	v_mov_b32_e32 v2, 0
	v_mov_b32_e32 v3, 0
	v_cmp_eq_u32_e64 s[4:5], s4, v30
	s_and_saveexec_b64 s[14:15], s[4:5]
	s_cbranch_execz .LBB6_2652
; %bb.2647:                             ;   in Loop: Header=BB6_2590 Depth=1
	global_load_dwordx2 v[24:25], v26, s[6:7] offset:24 glc
	s_waitcnt vmcnt(0)
	buffer_wbinvl1_vol
	global_load_dwordx2 v[2:3], v26, s[6:7] offset:40
	global_load_dwordx2 v[22:23], v26, s[6:7]
	s_waitcnt vmcnt(1)
	v_and_b32_e32 v2, v2, v24
	v_and_b32_e32 v3, v3, v25
	v_mul_lo_u32 v3, v3, 24
	v_mul_hi_u32 v27, v2, 24
	v_mul_lo_u32 v2, v2, 24
	v_add_u32_e32 v3, v27, v3
	s_waitcnt vmcnt(0)
	v_add_co_u32_e32 v2, vcc, v22, v2
	v_addc_co_u32_e32 v3, vcc, v23, v3, vcc
	global_load_dwordx2 v[22:23], v[2:3], off glc
	s_waitcnt vmcnt(0)
	global_atomic_cmpswap_x2 v[2:3], v26, v[22:25], s[6:7] offset:24 glc
	s_waitcnt vmcnt(0)
	buffer_wbinvl1_vol
	v_cmp_ne_u64_e32 vcc, v[2:3], v[24:25]
	s_and_saveexec_b64 s[16:17], vcc
	s_cbranch_execz .LBB6_2651
; %bb.2648:                             ;   in Loop: Header=BB6_2590 Depth=1
	s_mov_b64 s[18:19], 0
.LBB6_2649:                             ;   Parent Loop BB6_2590 Depth=1
                                        ; =>  This Inner Loop Header: Depth=2
	s_sleep 1
	global_load_dwordx2 v[22:23], v26, s[6:7] offset:40
	global_load_dwordx2 v[27:28], v26, s[6:7]
	v_mov_b32_e32 v25, v3
	v_mov_b32_e32 v24, v2
	s_waitcnt vmcnt(1)
	v_and_b32_e32 v2, v22, v24
	s_waitcnt vmcnt(0)
	v_mad_u64_u32 v[2:3], s[20:21], v2, 24, v[27:28]
	v_and_b32_e32 v22, v23, v25
	v_mad_u64_u32 v[22:23], s[20:21], v22, 24, v[3:4]
	v_mov_b32_e32 v3, v22
	global_load_dwordx2 v[22:23], v[2:3], off glc
	s_waitcnt vmcnt(0)
	global_atomic_cmpswap_x2 v[2:3], v26, v[22:25], s[6:7] offset:24 glc
	s_waitcnt vmcnt(0)
	buffer_wbinvl1_vol
	v_cmp_eq_u64_e32 vcc, v[2:3], v[24:25]
	s_or_b64 s[18:19], vcc, s[18:19]
	s_andn2_b64 exec, exec, s[18:19]
	s_cbranch_execnz .LBB6_2649
; %bb.2650:                             ;   in Loop: Header=BB6_2590 Depth=1
	s_or_b64 exec, exec, s[18:19]
.LBB6_2651:                             ;   in Loop: Header=BB6_2590 Depth=1
	s_or_b64 exec, exec, s[16:17]
.LBB6_2652:                             ;   in Loop: Header=BB6_2590 Depth=1
	s_or_b64 exec, exec, s[14:15]
	global_load_dwordx2 v[27:28], v26, s[6:7] offset:40
	global_load_dwordx4 v[22:25], v26, s[6:7]
	v_readfirstlane_b32 s15, v3
	v_readfirstlane_b32 s14, v2
	s_mov_b64 s[16:17], exec
	s_waitcnt vmcnt(1)
	v_readfirstlane_b32 s18, v27
	v_readfirstlane_b32 s19, v28
	s_and_b64 s[18:19], s[18:19], s[14:15]
	s_mul_i32 s20, s19, 24
	s_mul_hi_u32 s21, s18, 24
	s_mul_i32 s22, s18, 24
	s_add_i32 s20, s21, s20
	v_mov_b32_e32 v2, s20
	s_waitcnt vmcnt(0)
	v_add_co_u32_e32 v27, vcc, s22, v22
	v_addc_co_u32_e32 v28, vcc, v23, v2, vcc
	s_and_saveexec_b64 s[20:21], s[4:5]
	s_cbranch_execz .LBB6_2654
; %bb.2653:                             ;   in Loop: Header=BB6_2590 Depth=1
	v_mov_b32_e32 v2, s16
	v_mov_b32_e32 v3, s17
	global_store_dwordx4 v[27:28], v[2:5], off offset:8
.LBB6_2654:                             ;   in Loop: Header=BB6_2590 Depth=1
	s_or_b64 exec, exec, s[20:21]
	s_lshl_b64 s[16:17], s[18:19], 12
	v_cmp_gt_u64_e64 s[18:19], s[10:11], 56
	v_mov_b32_e32 v2, s17
	v_add_co_u32_e32 v24, vcc, s16, v24
	s_and_b64 s[16:17], s[18:19], exec
	s_cselect_b32 s16, 0, 2
	s_lshl_b32 s17, s12, 2
	v_addc_co_u32_e32 v31, vcc, v25, v2, vcc
	s_add_i32 s17, s17, 28
	v_and_b32_e32 v2, 0xffffff1f, v6
	s_and_b32 s17, s17, 0x1e0
	v_or_b32_e32 v2, s16, v2
	v_or_b32_e32 v6, s17, v2
	v_readfirstlane_b32 s16, v24
	v_readfirstlane_b32 s17, v31
	s_nop 4
	global_store_dwordx4 v29, v[6:9], s[16:17]
	global_store_dwordx4 v29, v[10:13], s[16:17] offset:16
	global_store_dwordx4 v29, v[14:17], s[16:17] offset:32
	;; [unrolled: 1-line block ×3, first 2 shown]
	s_and_saveexec_b64 s[16:17], s[4:5]
	s_cbranch_execz .LBB6_2662
; %bb.2655:                             ;   in Loop: Header=BB6_2590 Depth=1
	global_load_dwordx2 v[10:11], v26, s[6:7] offset:32 glc
	global_load_dwordx2 v[2:3], v26, s[6:7] offset:40
	v_mov_b32_e32 v8, s14
	v_mov_b32_e32 v9, s15
	s_waitcnt vmcnt(0)
	v_readfirstlane_b32 s18, v2
	v_readfirstlane_b32 s19, v3
	s_and_b64 s[18:19], s[18:19], s[14:15]
	s_mul_i32 s19, s19, 24
	s_mul_hi_u32 s20, s18, 24
	s_mul_i32 s18, s18, 24
	s_add_i32 s19, s20, s19
	v_mov_b32_e32 v3, s19
	v_add_co_u32_e32 v2, vcc, s18, v22
	v_addc_co_u32_e32 v3, vcc, v23, v3, vcc
	global_store_dwordx2 v[2:3], v[10:11], off
	s_waitcnt vmcnt(0)
	global_atomic_cmpswap_x2 v[8:9], v26, v[8:11], s[6:7] offset:32 glc
	s_waitcnt vmcnt(0)
	v_cmp_ne_u64_e32 vcc, v[8:9], v[10:11]
	s_and_saveexec_b64 s[18:19], vcc
	s_cbranch_execz .LBB6_2658
; %bb.2656:                             ;   in Loop: Header=BB6_2590 Depth=1
	s_mov_b64 s[20:21], 0
.LBB6_2657:                             ;   Parent Loop BB6_2590 Depth=1
                                        ; =>  This Inner Loop Header: Depth=2
	s_sleep 1
	global_store_dwordx2 v[2:3], v[8:9], off
	v_mov_b32_e32 v6, s14
	v_mov_b32_e32 v7, s15
	s_waitcnt vmcnt(0)
	global_atomic_cmpswap_x2 v[6:7], v26, v[6:9], s[6:7] offset:32 glc
	s_waitcnt vmcnt(0)
	v_cmp_eq_u64_e32 vcc, v[6:7], v[8:9]
	v_mov_b32_e32 v9, v7
	s_or_b64 s[20:21], vcc, s[20:21]
	v_mov_b32_e32 v8, v6
	s_andn2_b64 exec, exec, s[20:21]
	s_cbranch_execnz .LBB6_2657
.LBB6_2658:                             ;   in Loop: Header=BB6_2590 Depth=1
	s_or_b64 exec, exec, s[18:19]
	global_load_dwordx2 v[2:3], v26, s[6:7] offset:16
	s_mov_b64 s[20:21], exec
	v_mbcnt_lo_u32_b32 v6, s20, 0
	v_mbcnt_hi_u32_b32 v6, s21, v6
	v_cmp_eq_u32_e32 vcc, 0, v6
	s_and_saveexec_b64 s[18:19], vcc
	s_cbranch_execz .LBB6_2660
; %bb.2659:                             ;   in Loop: Header=BB6_2590 Depth=1
	s_bcnt1_i32_b64 s20, s[20:21]
	v_mov_b32_e32 v25, s20
	s_waitcnt vmcnt(0)
	global_atomic_add_x2 v[2:3], v[25:26], off offset:8
.LBB6_2660:                             ;   in Loop: Header=BB6_2590 Depth=1
	s_or_b64 exec, exec, s[18:19]
	s_waitcnt vmcnt(0)
	global_load_dwordx2 v[6:7], v[2:3], off offset:16
	s_waitcnt vmcnt(0)
	v_cmp_eq_u64_e32 vcc, 0, v[6:7]
	s_cbranch_vccnz .LBB6_2662
; %bb.2661:                             ;   in Loop: Header=BB6_2590 Depth=1
	global_load_dword v25, v[2:3], off offset:24
	s_waitcnt vmcnt(0)
	v_readfirstlane_b32 s18, v25
	s_and_b32 m0, s18, 0xffffff
	global_store_dwordx2 v[6:7], v[25:26], off
	s_sendmsg sendmsg(MSG_INTERRUPT)
.LBB6_2662:                             ;   in Loop: Header=BB6_2590 Depth=1
	s_or_b64 exec, exec, s[16:17]
	v_add_co_u32_e32 v2, vcc, v24, v29
	v_addc_co_u32_e32 v3, vcc, 0, v31, vcc
	s_branch .LBB6_2666
.LBB6_2663:                             ;   in Loop: Header=BB6_2666 Depth=2
	s_or_b64 exec, exec, s[16:17]
	v_readfirstlane_b32 s16, v6
	s_cmp_eq_u32 s16, 0
	s_cbranch_scc1 .LBB6_2665
; %bb.2664:                             ;   in Loop: Header=BB6_2666 Depth=2
	s_sleep 1
	s_cbranch_execnz .LBB6_2666
	s_branch .LBB6_2668
.LBB6_2665:                             ;   in Loop: Header=BB6_2590 Depth=1
	s_branch .LBB6_2668
.LBB6_2666:                             ;   Parent Loop BB6_2590 Depth=1
                                        ; =>  This Inner Loop Header: Depth=2
	v_mov_b32_e32 v6, 1
	s_and_saveexec_b64 s[16:17], s[4:5]
	s_cbranch_execz .LBB6_2663
; %bb.2667:                             ;   in Loop: Header=BB6_2666 Depth=2
	global_load_dword v6, v[27:28], off offset:20 glc
	s_waitcnt vmcnt(0)
	buffer_wbinvl1_vol
	v_and_b32_e32 v6, 1, v6
	s_branch .LBB6_2663
.LBB6_2668:                             ;   in Loop: Header=BB6_2590 Depth=1
	global_load_dwordx4 v[6:9], v[2:3], off
	s_and_saveexec_b64 s[16:17], s[4:5]
	s_cbranch_execz .LBB6_2589
; %bb.2669:                             ;   in Loop: Header=BB6_2590 Depth=1
	global_load_dwordx2 v[2:3], v26, s[6:7] offset:40
	global_load_dwordx2 v[12:13], v26, s[6:7] offset:24 glc
	global_load_dwordx2 v[8:9], v26, s[6:7]
	s_waitcnt vmcnt(2)
	v_readfirstlane_b32 s18, v2
	v_readfirstlane_b32 s19, v3
	s_add_u32 s20, s18, 1
	s_addc_u32 s21, s19, 0
	s_add_u32 s4, s20, s14
	s_addc_u32 s5, s21, s15
	s_cmp_eq_u64 s[4:5], 0
	s_cselect_b32 s5, s21, s5
	s_cselect_b32 s4, s20, s4
	s_and_b64 s[14:15], s[4:5], s[18:19]
	s_mul_i32 s15, s15, 24
	s_mul_hi_u32 s18, s14, 24
	s_mul_i32 s14, s14, 24
	s_add_i32 s15, s18, s15
	v_mov_b32_e32 v3, s15
	s_waitcnt vmcnt(0)
	v_add_co_u32_e32 v2, vcc, s14, v8
	v_addc_co_u32_e32 v3, vcc, v9, v3, vcc
	v_mov_b32_e32 v10, s4
	global_store_dwordx2 v[2:3], v[12:13], off
	v_mov_b32_e32 v11, s5
	s_waitcnt vmcnt(0)
	global_atomic_cmpswap_x2 v[10:11], v26, v[10:13], s[6:7] offset:24 glc
	s_waitcnt vmcnt(0)
	v_cmp_ne_u64_e32 vcc, v[10:11], v[12:13]
	s_and_b64 exec, exec, vcc
	s_cbranch_execz .LBB6_2589
; %bb.2670:                             ;   in Loop: Header=BB6_2590 Depth=1
	s_mov_b64 s[14:15], 0
.LBB6_2671:                             ;   Parent Loop BB6_2590 Depth=1
                                        ; =>  This Inner Loop Header: Depth=2
	s_sleep 1
	global_store_dwordx2 v[2:3], v[10:11], off
	v_mov_b32_e32 v8, s4
	v_mov_b32_e32 v9, s5
	s_waitcnt vmcnt(0)
	global_atomic_cmpswap_x2 v[8:9], v26, v[8:11], s[6:7] offset:24 glc
	s_waitcnt vmcnt(0)
	v_cmp_eq_u64_e32 vcc, v[8:9], v[10:11]
	v_mov_b32_e32 v11, v9
	s_or_b64 s[14:15], vcc, s[14:15]
	v_mov_b32_e32 v10, v8
	s_andn2_b64 exec, exec, s[14:15]
	s_cbranch_execnz .LBB6_2671
	s_branch .LBB6_2589
.LBB6_2672:
	s_mov_b64 s[4:5], 0
	s_branch .LBB6_2674
.LBB6_2673:
	s_mov_b64 s[4:5], -1
.LBB6_2674:
	s_and_b64 vcc, exec, s[4:5]
	s_cbranch_vccz .LBB6_2701
; %bb.2675:
	v_readfirstlane_b32 s4, v30
	s_waitcnt vmcnt(0)
	v_mov_b32_e32 v8, 0
	v_mov_b32_e32 v9, 0
	v_cmp_eq_u32_e64 s[4:5], s4, v30
	s_and_saveexec_b64 s[8:9], s[4:5]
	s_cbranch_execz .LBB6_2681
; %bb.2676:
	v_mov_b32_e32 v2, 0
	global_load_dwordx2 v[5:6], v2, s[6:7] offset:24 glc
	s_waitcnt vmcnt(0)
	buffer_wbinvl1_vol
	global_load_dwordx2 v[3:4], v2, s[6:7] offset:40
	global_load_dwordx2 v[7:8], v2, s[6:7]
	s_waitcnt vmcnt(1)
	v_and_b32_e32 v3, v3, v5
	v_and_b32_e32 v4, v4, v6
	v_mul_lo_u32 v4, v4, 24
	v_mul_hi_u32 v9, v3, 24
	v_mul_lo_u32 v3, v3, 24
	v_add_u32_e32 v4, v9, v4
	s_waitcnt vmcnt(0)
	v_add_co_u32_e32 v3, vcc, v7, v3
	v_addc_co_u32_e32 v4, vcc, v8, v4, vcc
	global_load_dwordx2 v[3:4], v[3:4], off glc
	s_waitcnt vmcnt(0)
	global_atomic_cmpswap_x2 v[8:9], v2, v[3:6], s[6:7] offset:24 glc
	s_waitcnt vmcnt(0)
	buffer_wbinvl1_vol
	v_cmp_ne_u64_e32 vcc, v[8:9], v[5:6]
	s_and_saveexec_b64 s[10:11], vcc
	s_cbranch_execz .LBB6_2680
; %bb.2677:
	s_mov_b64 s[12:13], 0
.LBB6_2678:                             ; =>This Inner Loop Header: Depth=1
	s_sleep 1
	global_load_dwordx2 v[3:4], v2, s[6:7] offset:40
	global_load_dwordx2 v[10:11], v2, s[6:7]
	v_mov_b32_e32 v5, v8
	v_mov_b32_e32 v6, v9
	s_waitcnt vmcnt(1)
	v_and_b32_e32 v3, v3, v5
	s_waitcnt vmcnt(0)
	v_mad_u64_u32 v[7:8], s[14:15], v3, 24, v[10:11]
	v_and_b32_e32 v4, v4, v6
	v_mov_b32_e32 v3, v8
	v_mad_u64_u32 v[3:4], s[14:15], v4, 24, v[3:4]
	v_mov_b32_e32 v8, v3
	global_load_dwordx2 v[3:4], v[7:8], off glc
	s_waitcnt vmcnt(0)
	global_atomic_cmpswap_x2 v[8:9], v2, v[3:6], s[6:7] offset:24 glc
	s_waitcnt vmcnt(0)
	buffer_wbinvl1_vol
	v_cmp_eq_u64_e32 vcc, v[8:9], v[5:6]
	s_or_b64 s[12:13], vcc, s[12:13]
	s_andn2_b64 exec, exec, s[12:13]
	s_cbranch_execnz .LBB6_2678
; %bb.2679:
	s_or_b64 exec, exec, s[12:13]
.LBB6_2680:
	s_or_b64 exec, exec, s[10:11]
.LBB6_2681:
	s_or_b64 exec, exec, s[8:9]
	v_mov_b32_e32 v2, 0
	global_load_dwordx2 v[10:11], v2, s[6:7] offset:40
	global_load_dwordx4 v[4:7], v2, s[6:7]
	v_readfirstlane_b32 s9, v9
	v_readfirstlane_b32 s8, v8
	s_mov_b64 s[10:11], exec
	s_waitcnt vmcnt(1)
	v_readfirstlane_b32 s12, v10
	v_readfirstlane_b32 s13, v11
	s_and_b64 s[12:13], s[12:13], s[8:9]
	s_mul_i32 s14, s13, 24
	s_mul_hi_u32 s15, s12, 24
	s_mul_i32 s16, s12, 24
	s_add_i32 s14, s15, s14
	v_mov_b32_e32 v3, s14
	s_waitcnt vmcnt(0)
	v_add_co_u32_e32 v8, vcc, s16, v4
	v_addc_co_u32_e32 v9, vcc, v5, v3, vcc
	s_and_saveexec_b64 s[14:15], s[4:5]
	s_cbranch_execz .LBB6_2683
; %bb.2682:
	v_mov_b32_e32 v10, s10
	v_mov_b32_e32 v11, s11
	;; [unrolled: 1-line block ×4, first 2 shown]
	global_store_dwordx4 v[8:9], v[10:13], off offset:8
.LBB6_2683:
	s_or_b64 exec, exec, s[14:15]
	s_lshl_b64 s[10:11], s[12:13], 12
	v_mov_b32_e32 v3, s11
	v_add_co_u32_e32 v6, vcc, s10, v6
	v_addc_co_u32_e32 v7, vcc, v7, v3, vcc
	s_movk_i32 s10, 0xff1d
	v_and_or_b32 v0, v0, s10, 34
	s_mov_b32 s12, 0
	v_mov_b32_e32 v3, v2
	v_readfirstlane_b32 s10, v6
	v_readfirstlane_b32 s11, v7
	s_mov_b32 s13, s12
	s_mov_b32 s14, s12
	;; [unrolled: 1-line block ×3, first 2 shown]
	s_nop 1
	global_store_dwordx4 v29, v[0:3], s[10:11]
	s_nop 0
	v_mov_b32_e32 v0, s12
	v_mov_b32_e32 v1, s13
	v_mov_b32_e32 v2, s14
	v_mov_b32_e32 v3, s15
	global_store_dwordx4 v29, v[0:3], s[10:11] offset:16
	global_store_dwordx4 v29, v[0:3], s[10:11] offset:32
	global_store_dwordx4 v29, v[0:3], s[10:11] offset:48
	s_and_saveexec_b64 s[10:11], s[4:5]
	s_cbranch_execz .LBB6_2691
; %bb.2684:
	v_mov_b32_e32 v6, 0
	global_load_dwordx2 v[12:13], v6, s[6:7] offset:32 glc
	global_load_dwordx2 v[0:1], v6, s[6:7] offset:40
	v_mov_b32_e32 v10, s8
	v_mov_b32_e32 v11, s9
	s_waitcnt vmcnt(0)
	v_readfirstlane_b32 s12, v0
	v_readfirstlane_b32 s13, v1
	s_and_b64 s[12:13], s[12:13], s[8:9]
	s_mul_i32 s13, s13, 24
	s_mul_hi_u32 s14, s12, 24
	s_mul_i32 s12, s12, 24
	s_add_i32 s13, s14, s13
	v_mov_b32_e32 v0, s13
	v_add_co_u32_e32 v4, vcc, s12, v4
	v_addc_co_u32_e32 v5, vcc, v5, v0, vcc
	global_store_dwordx2 v[4:5], v[12:13], off
	s_waitcnt vmcnt(0)
	global_atomic_cmpswap_x2 v[2:3], v6, v[10:13], s[6:7] offset:32 glc
	s_waitcnt vmcnt(0)
	v_cmp_ne_u64_e32 vcc, v[2:3], v[12:13]
	s_and_saveexec_b64 s[12:13], vcc
	s_cbranch_execz .LBB6_2687
; %bb.2685:
	s_mov_b64 s[14:15], 0
.LBB6_2686:                             ; =>This Inner Loop Header: Depth=1
	s_sleep 1
	global_store_dwordx2 v[4:5], v[2:3], off
	v_mov_b32_e32 v0, s8
	v_mov_b32_e32 v1, s9
	s_waitcnt vmcnt(0)
	global_atomic_cmpswap_x2 v[0:1], v6, v[0:3], s[6:7] offset:32 glc
	s_waitcnt vmcnt(0)
	v_cmp_eq_u64_e32 vcc, v[0:1], v[2:3]
	v_mov_b32_e32 v3, v1
	s_or_b64 s[14:15], vcc, s[14:15]
	v_mov_b32_e32 v2, v0
	s_andn2_b64 exec, exec, s[14:15]
	s_cbranch_execnz .LBB6_2686
.LBB6_2687:
	s_or_b64 exec, exec, s[12:13]
	v_mov_b32_e32 v3, 0
	global_load_dwordx2 v[0:1], v3, s[6:7] offset:16
	s_mov_b64 s[12:13], exec
	v_mbcnt_lo_u32_b32 v2, s12, 0
	v_mbcnt_hi_u32_b32 v2, s13, v2
	v_cmp_eq_u32_e32 vcc, 0, v2
	s_and_saveexec_b64 s[14:15], vcc
	s_cbranch_execz .LBB6_2689
; %bb.2688:
	s_bcnt1_i32_b64 s12, s[12:13]
	v_mov_b32_e32 v2, s12
	s_waitcnt vmcnt(0)
	global_atomic_add_x2 v[0:1], v[2:3], off offset:8
.LBB6_2689:
	s_or_b64 exec, exec, s[14:15]
	s_waitcnt vmcnt(0)
	global_load_dwordx2 v[2:3], v[0:1], off offset:16
	s_waitcnt vmcnt(0)
	v_cmp_eq_u64_e32 vcc, 0, v[2:3]
	s_cbranch_vccnz .LBB6_2691
; %bb.2690:
	global_load_dword v0, v[0:1], off offset:24
	v_mov_b32_e32 v1, 0
	s_waitcnt vmcnt(0)
	v_readfirstlane_b32 s12, v0
	s_and_b32 m0, s12, 0xffffff
	global_store_dwordx2 v[2:3], v[0:1], off
	s_sendmsg sendmsg(MSG_INTERRUPT)
.LBB6_2691:
	s_or_b64 exec, exec, s[10:11]
	s_branch .LBB6_2695
.LBB6_2692:                             ;   in Loop: Header=BB6_2695 Depth=1
	s_or_b64 exec, exec, s[10:11]
	v_readfirstlane_b32 s10, v0
	s_cmp_eq_u32 s10, 0
	s_cbranch_scc1 .LBB6_2694
; %bb.2693:                             ;   in Loop: Header=BB6_2695 Depth=1
	s_sleep 1
	s_cbranch_execnz .LBB6_2695
	s_branch .LBB6_2697
.LBB6_2694:
	s_branch .LBB6_2697
.LBB6_2695:                             ; =>This Inner Loop Header: Depth=1
	v_mov_b32_e32 v0, 1
	s_and_saveexec_b64 s[10:11], s[4:5]
	s_cbranch_execz .LBB6_2692
; %bb.2696:                             ;   in Loop: Header=BB6_2695 Depth=1
	global_load_dword v0, v[8:9], off offset:20 glc
	s_waitcnt vmcnt(0)
	buffer_wbinvl1_vol
	v_and_b32_e32 v0, 1, v0
	s_branch .LBB6_2692
.LBB6_2697:
	s_and_saveexec_b64 s[10:11], s[4:5]
	s_cbranch_execz .LBB6_2700
; %bb.2698:
	v_mov_b32_e32 v6, 0
	global_load_dwordx2 v[0:1], v6, s[6:7] offset:40
	global_load_dwordx2 v[9:10], v6, s[6:7] offset:24 glc
	global_load_dwordx2 v[2:3], v6, s[6:7]
	s_waitcnt vmcnt(2)
	v_readfirstlane_b32 s12, v0
	v_readfirstlane_b32 s13, v1
	s_add_u32 s14, s12, 1
	s_addc_u32 s15, s13, 0
	s_add_u32 s4, s14, s8
	s_addc_u32 s5, s15, s9
	s_cmp_eq_u64 s[4:5], 0
	s_cselect_b32 s5, s15, s5
	s_cselect_b32 s4, s14, s4
	s_and_b64 s[8:9], s[4:5], s[12:13]
	s_mul_i32 s9, s9, 24
	s_mul_hi_u32 s12, s8, 24
	s_mul_i32 s8, s8, 24
	s_add_i32 s9, s12, s9
	v_mov_b32_e32 v0, s9
	s_waitcnt vmcnt(0)
	v_add_co_u32_e32 v4, vcc, s8, v2
	v_addc_co_u32_e32 v5, vcc, v3, v0, vcc
	v_mov_b32_e32 v7, s4
	global_store_dwordx2 v[4:5], v[9:10], off
	v_mov_b32_e32 v8, s5
	s_waitcnt vmcnt(0)
	global_atomic_cmpswap_x2 v[2:3], v6, v[7:10], s[6:7] offset:24 glc
	s_mov_b64 s[8:9], 0
	s_waitcnt vmcnt(0)
	v_cmp_ne_u64_e32 vcc, v[2:3], v[9:10]
	s_and_b64 exec, exec, vcc
	s_cbranch_execz .LBB6_2700
.LBB6_2699:                             ; =>This Inner Loop Header: Depth=1
	s_sleep 1
	global_store_dwordx2 v[4:5], v[2:3], off
	v_mov_b32_e32 v0, s4
	v_mov_b32_e32 v1, s5
	s_waitcnt vmcnt(0)
	global_atomic_cmpswap_x2 v[0:1], v6, v[0:3], s[6:7] offset:24 glc
	s_waitcnt vmcnt(0)
	v_cmp_eq_u64_e32 vcc, v[0:1], v[2:3]
	v_mov_b32_e32 v3, v1
	s_or_b64 s[8:9], vcc, s[8:9]
	v_mov_b32_e32 v2, v0
	s_andn2_b64 exec, exec, s[8:9]
	s_cbranch_execnz .LBB6_2699
.LBB6_2700:
	s_or_b64 exec, exec, s[10:11]
.LBB6_2701:
	s_getpc_b64 s[4:5]
	s_add_u32 s4, s4, .str.29@rel32@lo+4
	s_addc_u32 s5, s5, .str.29@rel32@hi+12
	s_getpc_b64 s[6:7]
	s_add_u32 s6, s6, .str.19@rel32@lo+4
	s_addc_u32 s7, s7, .str.19@rel32@hi+12
	s_getpc_b64 s[10:11]
	s_add_u32 s10, s10, __PRETTY_FUNCTION__._ZN7VecsMemIjLi8192EE5fetchEi@rel32@lo+4
	s_addc_u32 s11, s11, __PRETTY_FUNCTION__._ZN7VecsMemIjLi8192EE5fetchEi@rel32@hi+12
	s_getpc_b64 s[12:13]
	s_add_u32 s12, s12, __assert_fail@rel32@lo+4
	s_addc_u32 s13, s13, __assert_fail@rel32@hi+12
	s_mov_b64 s[8:9], s[64:65]
	s_waitcnt vmcnt(0)
	v_mov_b32_e32 v0, s4
	v_mov_b32_e32 v1, s5
	;; [unrolled: 1-line block ×7, first 2 shown]
	s_swappc_b64 s[30:31], s[12:13]
	s_or_b64 s[28:29], s[28:29], exec
.LBB6_2702:
	s_or_b64 exec, exec, s[26:27]
	s_and_saveexec_b64 s[4:5], s[60:61]
	s_xor_b64 s[26:27], exec, s[4:5]
	s_cbranch_execz .LBB6_2843
; %bb.2703:
	s_load_dwordx2 s[6:7], s[64:65], 0x50
	v_mbcnt_lo_u32_b32 v0, -1, 0
	v_mbcnt_hi_u32_b32 v30, -1, v0
	v_readfirstlane_b32 s4, v30
	v_mov_b32_e32 v5, 0
	v_mov_b32_e32 v6, 0
	v_cmp_eq_u32_e64 s[4:5], s4, v30
	s_and_saveexec_b64 s[8:9], s[4:5]
	s_cbranch_execz .LBB6_2709
; %bb.2704:
	v_mov_b32_e32 v0, 0
	s_waitcnt lgkmcnt(0)
	global_load_dwordx2 v[3:4], v0, s[6:7] offset:24 glc
	s_waitcnt vmcnt(0)
	buffer_wbinvl1_vol
	global_load_dwordx2 v[1:2], v0, s[6:7] offset:40
	global_load_dwordx2 v[5:6], v0, s[6:7]
	s_waitcnt vmcnt(1)
	v_and_b32_e32 v1, v1, v3
	v_and_b32_e32 v2, v2, v4
	v_mul_lo_u32 v2, v2, 24
	v_mul_hi_u32 v7, v1, 24
	v_mul_lo_u32 v1, v1, 24
	v_add_u32_e32 v2, v7, v2
	s_waitcnt vmcnt(0)
	v_add_co_u32_e32 v1, vcc, v5, v1
	v_addc_co_u32_e32 v2, vcc, v6, v2, vcc
	global_load_dwordx2 v[1:2], v[1:2], off glc
	s_waitcnt vmcnt(0)
	global_atomic_cmpswap_x2 v[5:6], v0, v[1:4], s[6:7] offset:24 glc
	s_waitcnt vmcnt(0)
	buffer_wbinvl1_vol
	v_cmp_ne_u64_e32 vcc, v[5:6], v[3:4]
	s_and_saveexec_b64 s[10:11], vcc
	s_cbranch_execz .LBB6_2708
; %bb.2705:
	s_mov_b64 s[12:13], 0
.LBB6_2706:                             ; =>This Inner Loop Header: Depth=1
	s_sleep 1
	global_load_dwordx2 v[1:2], v0, s[6:7] offset:40
	global_load_dwordx2 v[7:8], v0, s[6:7]
	v_mov_b32_e32 v3, v5
	v_mov_b32_e32 v4, v6
	s_waitcnt vmcnt(1)
	v_and_b32_e32 v1, v1, v3
	s_waitcnt vmcnt(0)
	v_mad_u64_u32 v[5:6], s[14:15], v1, 24, v[7:8]
	v_and_b32_e32 v2, v2, v4
	v_mov_b32_e32 v1, v6
	v_mad_u64_u32 v[1:2], s[14:15], v2, 24, v[1:2]
	v_mov_b32_e32 v6, v1
	global_load_dwordx2 v[1:2], v[5:6], off glc
	s_waitcnt vmcnt(0)
	global_atomic_cmpswap_x2 v[5:6], v0, v[1:4], s[6:7] offset:24 glc
	s_waitcnt vmcnt(0)
	buffer_wbinvl1_vol
	v_cmp_eq_u64_e32 vcc, v[5:6], v[3:4]
	s_or_b64 s[12:13], vcc, s[12:13]
	s_andn2_b64 exec, exec, s[12:13]
	s_cbranch_execnz .LBB6_2706
; %bb.2707:
	s_or_b64 exec, exec, s[12:13]
.LBB6_2708:
	s_or_b64 exec, exec, s[10:11]
.LBB6_2709:
	s_or_b64 exec, exec, s[8:9]
	v_mov_b32_e32 v4, 0
	s_waitcnt lgkmcnt(0)
	global_load_dwordx2 v[7:8], v4, s[6:7] offset:40
	global_load_dwordx4 v[0:3], v4, s[6:7]
	v_readfirstlane_b32 s9, v6
	v_readfirstlane_b32 s8, v5
	s_mov_b64 s[10:11], exec
	s_waitcnt vmcnt(0)
	v_readfirstlane_b32 s12, v7
	v_readfirstlane_b32 s13, v8
	s_and_b64 s[12:13], s[12:13], s[8:9]
	s_mul_i32 s14, s13, 24
	s_mul_hi_u32 s15, s12, 24
	s_mul_i32 s16, s12, 24
	s_add_i32 s14, s15, s14
	v_mov_b32_e32 v5, s14
	v_add_co_u32_e32 v7, vcc, s16, v0
	v_addc_co_u32_e32 v8, vcc, v1, v5, vcc
	s_and_saveexec_b64 s[14:15], s[4:5]
	s_cbranch_execz .LBB6_2711
; %bb.2710:
	v_mov_b32_e32 v9, s10
	v_mov_b32_e32 v10, s11
	;; [unrolled: 1-line block ×4, first 2 shown]
	global_store_dwordx4 v[7:8], v[9:12], off offset:8
.LBB6_2711:
	s_or_b64 exec, exec, s[14:15]
	s_lshl_b64 s[10:11], s[12:13], 12
	v_mov_b32_e32 v5, s11
	v_add_co_u32_e32 v2, vcc, s10, v2
	v_addc_co_u32_e32 v11, vcc, v3, v5, vcc
	v_lshlrev_b32_e32 v29, 6, v30
	s_mov_b32 s12, 0
	v_mov_b32_e32 v3, 33
	v_mov_b32_e32 v5, v4
	;; [unrolled: 1-line block ×3, first 2 shown]
	v_readfirstlane_b32 s10, v2
	v_readfirstlane_b32 s11, v11
	v_add_co_u32_e32 v9, vcc, v2, v29
	s_mov_b32 s13, s12
	s_mov_b32 s14, s12
	;; [unrolled: 1-line block ×3, first 2 shown]
	s_nop 0
	global_store_dwordx4 v29, v[3:6], s[10:11]
	v_mov_b32_e32 v2, s12
	v_addc_co_u32_e32 v10, vcc, 0, v11, vcc
	v_mov_b32_e32 v3, s13
	v_mov_b32_e32 v4, s14
	;; [unrolled: 1-line block ×3, first 2 shown]
	global_store_dwordx4 v29, v[2:5], s[10:11] offset:16
	global_store_dwordx4 v29, v[2:5], s[10:11] offset:32
	global_store_dwordx4 v29, v[2:5], s[10:11] offset:48
	s_and_saveexec_b64 s[10:11], s[4:5]
	s_cbranch_execz .LBB6_2719
; %bb.2712:
	v_mov_b32_e32 v6, 0
	global_load_dwordx2 v[13:14], v6, s[6:7] offset:32 glc
	global_load_dwordx2 v[2:3], v6, s[6:7] offset:40
	v_mov_b32_e32 v11, s8
	v_mov_b32_e32 v12, s9
	s_waitcnt vmcnt(0)
	v_and_b32_e32 v2, s8, v2
	v_and_b32_e32 v3, s9, v3
	v_mul_lo_u32 v3, v3, 24
	v_mul_hi_u32 v4, v2, 24
	v_mul_lo_u32 v2, v2, 24
	v_add_u32_e32 v3, v4, v3
	v_add_co_u32_e32 v4, vcc, v0, v2
	v_addc_co_u32_e32 v5, vcc, v1, v3, vcc
	global_store_dwordx2 v[4:5], v[13:14], off
	s_waitcnt vmcnt(0)
	global_atomic_cmpswap_x2 v[2:3], v6, v[11:14], s[6:7] offset:32 glc
	s_waitcnt vmcnt(0)
	v_cmp_ne_u64_e32 vcc, v[2:3], v[13:14]
	s_and_saveexec_b64 s[12:13], vcc
	s_cbranch_execz .LBB6_2715
; %bb.2713:
	s_mov_b64 s[14:15], 0
.LBB6_2714:                             ; =>This Inner Loop Header: Depth=1
	s_sleep 1
	global_store_dwordx2 v[4:5], v[2:3], off
	v_mov_b32_e32 v0, s8
	v_mov_b32_e32 v1, s9
	s_waitcnt vmcnt(0)
	global_atomic_cmpswap_x2 v[0:1], v6, v[0:3], s[6:7] offset:32 glc
	s_waitcnt vmcnt(0)
	v_cmp_eq_u64_e32 vcc, v[0:1], v[2:3]
	v_mov_b32_e32 v3, v1
	s_or_b64 s[14:15], vcc, s[14:15]
	v_mov_b32_e32 v2, v0
	s_andn2_b64 exec, exec, s[14:15]
	s_cbranch_execnz .LBB6_2714
.LBB6_2715:
	s_or_b64 exec, exec, s[12:13]
	v_mov_b32_e32 v3, 0
	global_load_dwordx2 v[0:1], v3, s[6:7] offset:16
	s_mov_b64 s[12:13], exec
	v_mbcnt_lo_u32_b32 v2, s12, 0
	v_mbcnt_hi_u32_b32 v2, s13, v2
	v_cmp_eq_u32_e32 vcc, 0, v2
	s_and_saveexec_b64 s[14:15], vcc
	s_cbranch_execz .LBB6_2717
; %bb.2716:
	s_bcnt1_i32_b64 s12, s[12:13]
	v_mov_b32_e32 v2, s12
	s_waitcnt vmcnt(0)
	global_atomic_add_x2 v[0:1], v[2:3], off offset:8
.LBB6_2717:
	s_or_b64 exec, exec, s[14:15]
	s_waitcnt vmcnt(0)
	global_load_dwordx2 v[2:3], v[0:1], off offset:16
	s_waitcnt vmcnt(0)
	v_cmp_eq_u64_e32 vcc, 0, v[2:3]
	s_cbranch_vccnz .LBB6_2719
; %bb.2718:
	global_load_dword v0, v[0:1], off offset:24
	v_mov_b32_e32 v1, 0
	s_waitcnt vmcnt(0)
	v_readfirstlane_b32 s12, v0
	s_and_b32 m0, s12, 0xffffff
	global_store_dwordx2 v[2:3], v[0:1], off
	s_sendmsg sendmsg(MSG_INTERRUPT)
.LBB6_2719:
	s_or_b64 exec, exec, s[10:11]
	s_branch .LBB6_2723
.LBB6_2720:                             ;   in Loop: Header=BB6_2723 Depth=1
	s_or_b64 exec, exec, s[10:11]
	v_readfirstlane_b32 s10, v0
	s_cmp_eq_u32 s10, 0
	s_cbranch_scc1 .LBB6_2722
; %bb.2721:                             ;   in Loop: Header=BB6_2723 Depth=1
	s_sleep 1
	s_cbranch_execnz .LBB6_2723
	s_branch .LBB6_2725
.LBB6_2722:
	s_branch .LBB6_2725
.LBB6_2723:                             ; =>This Inner Loop Header: Depth=1
	v_mov_b32_e32 v0, 1
	s_and_saveexec_b64 s[10:11], s[4:5]
	s_cbranch_execz .LBB6_2720
; %bb.2724:                             ;   in Loop: Header=BB6_2723 Depth=1
	global_load_dword v0, v[7:8], off offset:20 glc
	s_waitcnt vmcnt(0)
	buffer_wbinvl1_vol
	v_and_b32_e32 v0, 1, v0
	s_branch .LBB6_2720
.LBB6_2725:
	global_load_dwordx2 v[0:1], v[9:10], off
	s_and_saveexec_b64 s[10:11], s[4:5]
	s_cbranch_execz .LBB6_2728
; %bb.2726:
	v_mov_b32_e32 v8, 0
	global_load_dwordx2 v[2:3], v8, s[6:7] offset:40
	global_load_dwordx2 v[11:12], v8, s[6:7] offset:24 glc
	global_load_dwordx2 v[4:5], v8, s[6:7]
	s_waitcnt vmcnt(2)
	v_readfirstlane_b32 s12, v2
	v_readfirstlane_b32 s13, v3
	s_add_u32 s14, s12, 1
	s_addc_u32 s15, s13, 0
	s_add_u32 s4, s14, s8
	s_addc_u32 s5, s15, s9
	s_cmp_eq_u64 s[4:5], 0
	s_cselect_b32 s5, s15, s5
	s_cselect_b32 s4, s14, s4
	s_and_b64 s[8:9], s[4:5], s[12:13]
	s_mul_i32 s9, s9, 24
	s_mul_hi_u32 s12, s8, 24
	s_mul_i32 s8, s8, 24
	s_add_i32 s9, s12, s9
	v_mov_b32_e32 v2, s9
	s_waitcnt vmcnt(0)
	v_add_co_u32_e32 v6, vcc, s8, v4
	v_addc_co_u32_e32 v7, vcc, v5, v2, vcc
	v_mov_b32_e32 v9, s4
	global_store_dwordx2 v[6:7], v[11:12], off
	v_mov_b32_e32 v10, s5
	s_waitcnt vmcnt(0)
	global_atomic_cmpswap_x2 v[4:5], v8, v[9:12], s[6:7] offset:24 glc
	s_mov_b64 s[8:9], 0
	s_waitcnt vmcnt(0)
	v_cmp_ne_u64_e32 vcc, v[4:5], v[11:12]
	s_and_b64 exec, exec, vcc
	s_cbranch_execz .LBB6_2728
.LBB6_2727:                             ; =>This Inner Loop Header: Depth=1
	s_sleep 1
	global_store_dwordx2 v[6:7], v[4:5], off
	v_mov_b32_e32 v2, s4
	v_mov_b32_e32 v3, s5
	s_waitcnt vmcnt(0)
	global_atomic_cmpswap_x2 v[2:3], v8, v[2:5], s[6:7] offset:24 glc
	s_waitcnt vmcnt(0)
	v_cmp_eq_u64_e32 vcc, v[2:3], v[4:5]
	v_mov_b32_e32 v5, v3
	s_or_b64 s[8:9], vcc, s[8:9]
	v_mov_b32_e32 v4, v2
	s_andn2_b64 exec, exec, s[8:9]
	s_cbranch_execnz .LBB6_2727
.LBB6_2728:
	s_or_b64 exec, exec, s[10:11]
	s_getpc_b64 s[8:9]
	s_add_u32 s8, s8, .str.28@rel32@lo+4
	s_addc_u32 s9, s9, .str.28@rel32@hi+12
	s_cmp_lg_u64 s[8:9], 0
	s_cbranch_scc0 .LBB6_2814
; %bb.2729:
	s_waitcnt vmcnt(0)
	v_and_b32_e32 v6, -3, v0
	v_mov_b32_e32 v7, v1
	s_mov_b64 s[10:11], 35
	v_mov_b32_e32 v26, 0
	v_mov_b32_e32 v4, 2
	;; [unrolled: 1-line block ×3, first 2 shown]
	s_branch .LBB6_2731
.LBB6_2730:                             ;   in Loop: Header=BB6_2731 Depth=1
	s_or_b64 exec, exec, s[16:17]
	s_sub_u32 s10, s10, s12
	s_subb_u32 s11, s11, s13
	s_add_u32 s8, s8, s12
	s_addc_u32 s9, s9, s13
	s_cmp_lg_u64 s[10:11], 0
	s_cbranch_scc0 .LBB6_2813
.LBB6_2731:                             ; =>This Loop Header: Depth=1
                                        ;     Child Loop BB6_2734 Depth 2
                                        ;     Child Loop BB6_2742 Depth 2
	;; [unrolled: 1-line block ×11, first 2 shown]
	v_cmp_lt_u64_e64 s[4:5], s[10:11], 56
	v_cmp_gt_u64_e64 s[14:15], s[10:11], 7
	s_and_b64 s[4:5], s[4:5], exec
	s_cselect_b32 s13, s11, 0
	s_cselect_b32 s12, s10, 56
	s_add_u32 s4, s8, 8
	s_addc_u32 s5, s9, 0
	s_and_b64 vcc, exec, s[14:15]
	s_cbranch_vccnz .LBB6_2735
; %bb.2732:                             ;   in Loop: Header=BB6_2731 Depth=1
	s_cmp_eq_u64 s[10:11], 0
	s_cbranch_scc1 .LBB6_2736
; %bb.2733:                             ;   in Loop: Header=BB6_2731 Depth=1
	s_waitcnt vmcnt(0)
	v_mov_b32_e32 v8, 0
	s_lshl_b64 s[4:5], s[12:13], 3
	s_mov_b64 s[14:15], 0
	v_mov_b32_e32 v9, 0
	s_mov_b64 s[16:17], s[8:9]
.LBB6_2734:                             ;   Parent Loop BB6_2731 Depth=1
                                        ; =>  This Inner Loop Header: Depth=2
	global_load_ubyte v2, v26, s[16:17]
	s_waitcnt vmcnt(0)
	v_and_b32_e32 v25, 0xffff, v2
	v_lshlrev_b64 v[2:3], s14, v[25:26]
	s_add_u32 s14, s14, 8
	s_addc_u32 s15, s15, 0
	s_add_u32 s16, s16, 1
	s_addc_u32 s17, s17, 0
	v_or_b32_e32 v8, v2, v8
	s_cmp_lg_u32 s4, s14
	v_or_b32_e32 v9, v3, v9
	s_cbranch_scc1 .LBB6_2734
	s_branch .LBB6_2737
.LBB6_2735:                             ;   in Loop: Header=BB6_2731 Depth=1
	s_mov_b32 s18, 0
	s_branch .LBB6_2738
.LBB6_2736:                             ;   in Loop: Header=BB6_2731 Depth=1
	s_waitcnt vmcnt(0)
	v_mov_b32_e32 v8, 0
	v_mov_b32_e32 v9, 0
.LBB6_2737:                             ;   in Loop: Header=BB6_2731 Depth=1
	s_mov_b64 s[4:5], s[8:9]
	s_mov_b32 s18, 0
	s_cbranch_execnz .LBB6_2739
.LBB6_2738:                             ;   in Loop: Header=BB6_2731 Depth=1
	global_load_dwordx2 v[8:9], v26, s[8:9]
	s_add_i32 s18, s12, -8
.LBB6_2739:                             ;   in Loop: Header=BB6_2731 Depth=1
	s_add_u32 s14, s4, 8
	s_addc_u32 s15, s5, 0
	s_cmp_gt_u32 s18, 7
	s_cbranch_scc1 .LBB6_2743
; %bb.2740:                             ;   in Loop: Header=BB6_2731 Depth=1
	s_cmp_eq_u32 s18, 0
	s_cbranch_scc1 .LBB6_2744
; %bb.2741:                             ;   in Loop: Header=BB6_2731 Depth=1
	v_mov_b32_e32 v10, 0
	s_mov_b64 s[14:15], 0
	v_mov_b32_e32 v11, 0
	s_mov_b64 s[16:17], 0
.LBB6_2742:                             ;   Parent Loop BB6_2731 Depth=1
                                        ; =>  This Inner Loop Header: Depth=2
	s_add_u32 s20, s4, s16
	s_addc_u32 s21, s5, s17
	global_load_ubyte v2, v26, s[20:21]
	s_add_u32 s16, s16, 1
	s_addc_u32 s17, s17, 0
	s_waitcnt vmcnt(0)
	v_and_b32_e32 v25, 0xffff, v2
	v_lshlrev_b64 v[2:3], s14, v[25:26]
	s_add_u32 s14, s14, 8
	s_addc_u32 s15, s15, 0
	v_or_b32_e32 v10, v2, v10
	s_cmp_lg_u32 s18, s16
	v_or_b32_e32 v11, v3, v11
	s_cbranch_scc1 .LBB6_2742
	s_branch .LBB6_2745
.LBB6_2743:                             ;   in Loop: Header=BB6_2731 Depth=1
                                        ; implicit-def: $vgpr10_vgpr11
	s_mov_b32 s19, 0
	s_branch .LBB6_2746
.LBB6_2744:                             ;   in Loop: Header=BB6_2731 Depth=1
	v_mov_b32_e32 v10, 0
	v_mov_b32_e32 v11, 0
.LBB6_2745:                             ;   in Loop: Header=BB6_2731 Depth=1
	s_mov_b64 s[14:15], s[4:5]
	s_mov_b32 s19, 0
	s_cbranch_execnz .LBB6_2747
.LBB6_2746:                             ;   in Loop: Header=BB6_2731 Depth=1
	global_load_dwordx2 v[10:11], v26, s[4:5]
	s_add_i32 s19, s18, -8
.LBB6_2747:                             ;   in Loop: Header=BB6_2731 Depth=1
	s_add_u32 s4, s14, 8
	s_addc_u32 s5, s15, 0
	s_cmp_gt_u32 s19, 7
	s_cbranch_scc1 .LBB6_2751
; %bb.2748:                             ;   in Loop: Header=BB6_2731 Depth=1
	s_cmp_eq_u32 s19, 0
	s_cbranch_scc1 .LBB6_2752
; %bb.2749:                             ;   in Loop: Header=BB6_2731 Depth=1
	v_mov_b32_e32 v12, 0
	s_mov_b64 s[4:5], 0
	v_mov_b32_e32 v13, 0
	s_mov_b64 s[16:17], 0
.LBB6_2750:                             ;   Parent Loop BB6_2731 Depth=1
                                        ; =>  This Inner Loop Header: Depth=2
	s_add_u32 s20, s14, s16
	s_addc_u32 s21, s15, s17
	global_load_ubyte v2, v26, s[20:21]
	s_add_u32 s16, s16, 1
	s_addc_u32 s17, s17, 0
	s_waitcnt vmcnt(0)
	v_and_b32_e32 v25, 0xffff, v2
	v_lshlrev_b64 v[2:3], s4, v[25:26]
	s_add_u32 s4, s4, 8
	s_addc_u32 s5, s5, 0
	v_or_b32_e32 v12, v2, v12
	s_cmp_lg_u32 s19, s16
	v_or_b32_e32 v13, v3, v13
	s_cbranch_scc1 .LBB6_2750
	s_branch .LBB6_2753
.LBB6_2751:                             ;   in Loop: Header=BB6_2731 Depth=1
	s_mov_b32 s18, 0
	s_branch .LBB6_2754
.LBB6_2752:                             ;   in Loop: Header=BB6_2731 Depth=1
	v_mov_b32_e32 v12, 0
	v_mov_b32_e32 v13, 0
.LBB6_2753:                             ;   in Loop: Header=BB6_2731 Depth=1
	s_mov_b64 s[4:5], s[14:15]
	s_mov_b32 s18, 0
	s_cbranch_execnz .LBB6_2755
.LBB6_2754:                             ;   in Loop: Header=BB6_2731 Depth=1
	global_load_dwordx2 v[12:13], v26, s[14:15]
	s_add_i32 s18, s19, -8
.LBB6_2755:                             ;   in Loop: Header=BB6_2731 Depth=1
	s_add_u32 s14, s4, 8
	s_addc_u32 s15, s5, 0
	s_cmp_gt_u32 s18, 7
	s_cbranch_scc1 .LBB6_2759
; %bb.2756:                             ;   in Loop: Header=BB6_2731 Depth=1
	s_cmp_eq_u32 s18, 0
	s_cbranch_scc1 .LBB6_2760
; %bb.2757:                             ;   in Loop: Header=BB6_2731 Depth=1
	v_mov_b32_e32 v14, 0
	s_mov_b64 s[14:15], 0
	v_mov_b32_e32 v15, 0
	s_mov_b64 s[16:17], 0
.LBB6_2758:                             ;   Parent Loop BB6_2731 Depth=1
                                        ; =>  This Inner Loop Header: Depth=2
	s_add_u32 s20, s4, s16
	s_addc_u32 s21, s5, s17
	global_load_ubyte v2, v26, s[20:21]
	s_add_u32 s16, s16, 1
	s_addc_u32 s17, s17, 0
	s_waitcnt vmcnt(0)
	v_and_b32_e32 v25, 0xffff, v2
	v_lshlrev_b64 v[2:3], s14, v[25:26]
	s_add_u32 s14, s14, 8
	s_addc_u32 s15, s15, 0
	v_or_b32_e32 v14, v2, v14
	s_cmp_lg_u32 s18, s16
	v_or_b32_e32 v15, v3, v15
	s_cbranch_scc1 .LBB6_2758
	s_branch .LBB6_2761
.LBB6_2759:                             ;   in Loop: Header=BB6_2731 Depth=1
                                        ; implicit-def: $vgpr14_vgpr15
	s_mov_b32 s19, 0
	s_branch .LBB6_2762
.LBB6_2760:                             ;   in Loop: Header=BB6_2731 Depth=1
	v_mov_b32_e32 v14, 0
	v_mov_b32_e32 v15, 0
.LBB6_2761:                             ;   in Loop: Header=BB6_2731 Depth=1
	s_mov_b64 s[14:15], s[4:5]
	s_mov_b32 s19, 0
	s_cbranch_execnz .LBB6_2763
.LBB6_2762:                             ;   in Loop: Header=BB6_2731 Depth=1
	global_load_dwordx2 v[14:15], v26, s[4:5]
	s_add_i32 s19, s18, -8
.LBB6_2763:                             ;   in Loop: Header=BB6_2731 Depth=1
	s_add_u32 s4, s14, 8
	s_addc_u32 s5, s15, 0
	s_cmp_gt_u32 s19, 7
	s_cbranch_scc1 .LBB6_2767
; %bb.2764:                             ;   in Loop: Header=BB6_2731 Depth=1
	s_cmp_eq_u32 s19, 0
	s_cbranch_scc1 .LBB6_2768
; %bb.2765:                             ;   in Loop: Header=BB6_2731 Depth=1
	v_mov_b32_e32 v16, 0
	s_mov_b64 s[4:5], 0
	v_mov_b32_e32 v17, 0
	s_mov_b64 s[16:17], 0
.LBB6_2766:                             ;   Parent Loop BB6_2731 Depth=1
                                        ; =>  This Inner Loop Header: Depth=2
	s_add_u32 s20, s14, s16
	s_addc_u32 s21, s15, s17
	global_load_ubyte v2, v26, s[20:21]
	s_add_u32 s16, s16, 1
	s_addc_u32 s17, s17, 0
	s_waitcnt vmcnt(0)
	v_and_b32_e32 v25, 0xffff, v2
	v_lshlrev_b64 v[2:3], s4, v[25:26]
	s_add_u32 s4, s4, 8
	s_addc_u32 s5, s5, 0
	v_or_b32_e32 v16, v2, v16
	s_cmp_lg_u32 s19, s16
	v_or_b32_e32 v17, v3, v17
	s_cbranch_scc1 .LBB6_2766
	s_branch .LBB6_2769
.LBB6_2767:                             ;   in Loop: Header=BB6_2731 Depth=1
	s_mov_b32 s18, 0
	s_branch .LBB6_2770
.LBB6_2768:                             ;   in Loop: Header=BB6_2731 Depth=1
	v_mov_b32_e32 v16, 0
	v_mov_b32_e32 v17, 0
.LBB6_2769:                             ;   in Loop: Header=BB6_2731 Depth=1
	s_mov_b64 s[4:5], s[14:15]
	s_mov_b32 s18, 0
	s_cbranch_execnz .LBB6_2771
.LBB6_2770:                             ;   in Loop: Header=BB6_2731 Depth=1
	global_load_dwordx2 v[16:17], v26, s[14:15]
	s_add_i32 s18, s19, -8
.LBB6_2771:                             ;   in Loop: Header=BB6_2731 Depth=1
	s_add_u32 s14, s4, 8
	s_addc_u32 s15, s5, 0
	s_cmp_gt_u32 s18, 7
	s_cbranch_scc1 .LBB6_2775
; %bb.2772:                             ;   in Loop: Header=BB6_2731 Depth=1
	s_cmp_eq_u32 s18, 0
	s_cbranch_scc1 .LBB6_2776
; %bb.2773:                             ;   in Loop: Header=BB6_2731 Depth=1
	v_mov_b32_e32 v18, 0
	s_mov_b64 s[14:15], 0
	v_mov_b32_e32 v19, 0
	s_mov_b64 s[16:17], 0
.LBB6_2774:                             ;   Parent Loop BB6_2731 Depth=1
                                        ; =>  This Inner Loop Header: Depth=2
	s_add_u32 s20, s4, s16
	s_addc_u32 s21, s5, s17
	global_load_ubyte v2, v26, s[20:21]
	s_add_u32 s16, s16, 1
	s_addc_u32 s17, s17, 0
	s_waitcnt vmcnt(0)
	v_and_b32_e32 v25, 0xffff, v2
	v_lshlrev_b64 v[2:3], s14, v[25:26]
	s_add_u32 s14, s14, 8
	s_addc_u32 s15, s15, 0
	v_or_b32_e32 v18, v2, v18
	s_cmp_lg_u32 s18, s16
	v_or_b32_e32 v19, v3, v19
	s_cbranch_scc1 .LBB6_2774
	s_branch .LBB6_2777
.LBB6_2775:                             ;   in Loop: Header=BB6_2731 Depth=1
                                        ; implicit-def: $vgpr18_vgpr19
	s_mov_b32 s19, 0
	s_branch .LBB6_2778
.LBB6_2776:                             ;   in Loop: Header=BB6_2731 Depth=1
	v_mov_b32_e32 v18, 0
	v_mov_b32_e32 v19, 0
.LBB6_2777:                             ;   in Loop: Header=BB6_2731 Depth=1
	s_mov_b64 s[14:15], s[4:5]
	s_mov_b32 s19, 0
	s_cbranch_execnz .LBB6_2779
.LBB6_2778:                             ;   in Loop: Header=BB6_2731 Depth=1
	global_load_dwordx2 v[18:19], v26, s[4:5]
	s_add_i32 s19, s18, -8
.LBB6_2779:                             ;   in Loop: Header=BB6_2731 Depth=1
	s_cmp_gt_u32 s19, 7
	s_cbranch_scc1 .LBB6_2783
; %bb.2780:                             ;   in Loop: Header=BB6_2731 Depth=1
	s_cmp_eq_u32 s19, 0
	s_cbranch_scc1 .LBB6_2784
; %bb.2781:                             ;   in Loop: Header=BB6_2731 Depth=1
	v_mov_b32_e32 v20, 0
	s_mov_b64 s[4:5], 0
	v_mov_b32_e32 v21, 0
	s_mov_b64 s[16:17], s[14:15]
.LBB6_2782:                             ;   Parent Loop BB6_2731 Depth=1
                                        ; =>  This Inner Loop Header: Depth=2
	global_load_ubyte v2, v26, s[16:17]
	s_add_i32 s19, s19, -1
	s_waitcnt vmcnt(0)
	v_and_b32_e32 v25, 0xffff, v2
	v_lshlrev_b64 v[2:3], s4, v[25:26]
	s_add_u32 s4, s4, 8
	s_addc_u32 s5, s5, 0
	s_add_u32 s16, s16, 1
	s_addc_u32 s17, s17, 0
	v_or_b32_e32 v20, v2, v20
	s_cmp_lg_u32 s19, 0
	v_or_b32_e32 v21, v3, v21
	s_cbranch_scc1 .LBB6_2782
	s_branch .LBB6_2785
.LBB6_2783:                             ;   in Loop: Header=BB6_2731 Depth=1
	s_branch .LBB6_2786
.LBB6_2784:                             ;   in Loop: Header=BB6_2731 Depth=1
	v_mov_b32_e32 v20, 0
	v_mov_b32_e32 v21, 0
.LBB6_2785:                             ;   in Loop: Header=BB6_2731 Depth=1
	s_cbranch_execnz .LBB6_2787
.LBB6_2786:                             ;   in Loop: Header=BB6_2731 Depth=1
	global_load_dwordx2 v[20:21], v26, s[14:15]
.LBB6_2787:                             ;   in Loop: Header=BB6_2731 Depth=1
	v_readfirstlane_b32 s4, v30
	v_mov_b32_e32 v2, 0
	v_mov_b32_e32 v3, 0
	v_cmp_eq_u32_e64 s[4:5], s4, v30
	s_and_saveexec_b64 s[14:15], s[4:5]
	s_cbranch_execz .LBB6_2793
; %bb.2788:                             ;   in Loop: Header=BB6_2731 Depth=1
	global_load_dwordx2 v[24:25], v26, s[6:7] offset:24 glc
	s_waitcnt vmcnt(0)
	buffer_wbinvl1_vol
	global_load_dwordx2 v[2:3], v26, s[6:7] offset:40
	global_load_dwordx2 v[22:23], v26, s[6:7]
	s_waitcnt vmcnt(1)
	v_and_b32_e32 v2, v2, v24
	v_and_b32_e32 v3, v3, v25
	v_mul_lo_u32 v3, v3, 24
	v_mul_hi_u32 v27, v2, 24
	v_mul_lo_u32 v2, v2, 24
	v_add_u32_e32 v3, v27, v3
	s_waitcnt vmcnt(0)
	v_add_co_u32_e32 v2, vcc, v22, v2
	v_addc_co_u32_e32 v3, vcc, v23, v3, vcc
	global_load_dwordx2 v[22:23], v[2:3], off glc
	s_waitcnt vmcnt(0)
	global_atomic_cmpswap_x2 v[2:3], v26, v[22:25], s[6:7] offset:24 glc
	s_waitcnt vmcnt(0)
	buffer_wbinvl1_vol
	v_cmp_ne_u64_e32 vcc, v[2:3], v[24:25]
	s_and_saveexec_b64 s[16:17], vcc
	s_cbranch_execz .LBB6_2792
; %bb.2789:                             ;   in Loop: Header=BB6_2731 Depth=1
	s_mov_b64 s[18:19], 0
.LBB6_2790:                             ;   Parent Loop BB6_2731 Depth=1
                                        ; =>  This Inner Loop Header: Depth=2
	s_sleep 1
	global_load_dwordx2 v[22:23], v26, s[6:7] offset:40
	global_load_dwordx2 v[27:28], v26, s[6:7]
	v_mov_b32_e32 v25, v3
	v_mov_b32_e32 v24, v2
	s_waitcnt vmcnt(1)
	v_and_b32_e32 v2, v22, v24
	s_waitcnt vmcnt(0)
	v_mad_u64_u32 v[2:3], s[20:21], v2, 24, v[27:28]
	v_and_b32_e32 v22, v23, v25
	v_mad_u64_u32 v[22:23], s[20:21], v22, 24, v[3:4]
	v_mov_b32_e32 v3, v22
	global_load_dwordx2 v[22:23], v[2:3], off glc
	s_waitcnt vmcnt(0)
	global_atomic_cmpswap_x2 v[2:3], v26, v[22:25], s[6:7] offset:24 glc
	s_waitcnt vmcnt(0)
	buffer_wbinvl1_vol
	v_cmp_eq_u64_e32 vcc, v[2:3], v[24:25]
	s_or_b64 s[18:19], vcc, s[18:19]
	s_andn2_b64 exec, exec, s[18:19]
	s_cbranch_execnz .LBB6_2790
; %bb.2791:                             ;   in Loop: Header=BB6_2731 Depth=1
	s_or_b64 exec, exec, s[18:19]
.LBB6_2792:                             ;   in Loop: Header=BB6_2731 Depth=1
	s_or_b64 exec, exec, s[16:17]
.LBB6_2793:                             ;   in Loop: Header=BB6_2731 Depth=1
	s_or_b64 exec, exec, s[14:15]
	global_load_dwordx2 v[27:28], v26, s[6:7] offset:40
	global_load_dwordx4 v[22:25], v26, s[6:7]
	v_readfirstlane_b32 s15, v3
	v_readfirstlane_b32 s14, v2
	s_mov_b64 s[16:17], exec
	s_waitcnt vmcnt(1)
	v_readfirstlane_b32 s18, v27
	v_readfirstlane_b32 s19, v28
	s_and_b64 s[18:19], s[18:19], s[14:15]
	s_mul_i32 s20, s19, 24
	s_mul_hi_u32 s21, s18, 24
	s_mul_i32 s22, s18, 24
	s_add_i32 s20, s21, s20
	v_mov_b32_e32 v2, s20
	s_waitcnt vmcnt(0)
	v_add_co_u32_e32 v27, vcc, s22, v22
	v_addc_co_u32_e32 v28, vcc, v23, v2, vcc
	s_and_saveexec_b64 s[20:21], s[4:5]
	s_cbranch_execz .LBB6_2795
; %bb.2794:                             ;   in Loop: Header=BB6_2731 Depth=1
	v_mov_b32_e32 v2, s16
	v_mov_b32_e32 v3, s17
	global_store_dwordx4 v[27:28], v[2:5], off offset:8
.LBB6_2795:                             ;   in Loop: Header=BB6_2731 Depth=1
	s_or_b64 exec, exec, s[20:21]
	s_lshl_b64 s[16:17], s[18:19], 12
	v_cmp_gt_u64_e64 s[18:19], s[10:11], 56
	v_mov_b32_e32 v2, s17
	v_add_co_u32_e32 v24, vcc, s16, v24
	s_and_b64 s[16:17], s[18:19], exec
	s_cselect_b32 s16, 0, 2
	s_lshl_b32 s17, s12, 2
	v_addc_co_u32_e32 v31, vcc, v25, v2, vcc
	s_add_i32 s17, s17, 28
	v_and_b32_e32 v2, 0xffffff1f, v6
	s_and_b32 s17, s17, 0x1e0
	v_or_b32_e32 v2, s16, v2
	v_or_b32_e32 v6, s17, v2
	v_readfirstlane_b32 s16, v24
	v_readfirstlane_b32 s17, v31
	s_nop 4
	global_store_dwordx4 v29, v[6:9], s[16:17]
	global_store_dwordx4 v29, v[10:13], s[16:17] offset:16
	global_store_dwordx4 v29, v[14:17], s[16:17] offset:32
	;; [unrolled: 1-line block ×3, first 2 shown]
	s_and_saveexec_b64 s[16:17], s[4:5]
	s_cbranch_execz .LBB6_2803
; %bb.2796:                             ;   in Loop: Header=BB6_2731 Depth=1
	global_load_dwordx2 v[10:11], v26, s[6:7] offset:32 glc
	global_load_dwordx2 v[2:3], v26, s[6:7] offset:40
	v_mov_b32_e32 v8, s14
	v_mov_b32_e32 v9, s15
	s_waitcnt vmcnt(0)
	v_readfirstlane_b32 s18, v2
	v_readfirstlane_b32 s19, v3
	s_and_b64 s[18:19], s[18:19], s[14:15]
	s_mul_i32 s19, s19, 24
	s_mul_hi_u32 s20, s18, 24
	s_mul_i32 s18, s18, 24
	s_add_i32 s19, s20, s19
	v_mov_b32_e32 v3, s19
	v_add_co_u32_e32 v2, vcc, s18, v22
	v_addc_co_u32_e32 v3, vcc, v23, v3, vcc
	global_store_dwordx2 v[2:3], v[10:11], off
	s_waitcnt vmcnt(0)
	global_atomic_cmpswap_x2 v[8:9], v26, v[8:11], s[6:7] offset:32 glc
	s_waitcnt vmcnt(0)
	v_cmp_ne_u64_e32 vcc, v[8:9], v[10:11]
	s_and_saveexec_b64 s[18:19], vcc
	s_cbranch_execz .LBB6_2799
; %bb.2797:                             ;   in Loop: Header=BB6_2731 Depth=1
	s_mov_b64 s[20:21], 0
.LBB6_2798:                             ;   Parent Loop BB6_2731 Depth=1
                                        ; =>  This Inner Loop Header: Depth=2
	s_sleep 1
	global_store_dwordx2 v[2:3], v[8:9], off
	v_mov_b32_e32 v6, s14
	v_mov_b32_e32 v7, s15
	s_waitcnt vmcnt(0)
	global_atomic_cmpswap_x2 v[6:7], v26, v[6:9], s[6:7] offset:32 glc
	s_waitcnt vmcnt(0)
	v_cmp_eq_u64_e32 vcc, v[6:7], v[8:9]
	v_mov_b32_e32 v9, v7
	s_or_b64 s[20:21], vcc, s[20:21]
	v_mov_b32_e32 v8, v6
	s_andn2_b64 exec, exec, s[20:21]
	s_cbranch_execnz .LBB6_2798
.LBB6_2799:                             ;   in Loop: Header=BB6_2731 Depth=1
	s_or_b64 exec, exec, s[18:19]
	global_load_dwordx2 v[2:3], v26, s[6:7] offset:16
	s_mov_b64 s[20:21], exec
	v_mbcnt_lo_u32_b32 v6, s20, 0
	v_mbcnt_hi_u32_b32 v6, s21, v6
	v_cmp_eq_u32_e32 vcc, 0, v6
	s_and_saveexec_b64 s[18:19], vcc
	s_cbranch_execz .LBB6_2801
; %bb.2800:                             ;   in Loop: Header=BB6_2731 Depth=1
	s_bcnt1_i32_b64 s20, s[20:21]
	v_mov_b32_e32 v25, s20
	s_waitcnt vmcnt(0)
	global_atomic_add_x2 v[2:3], v[25:26], off offset:8
.LBB6_2801:                             ;   in Loop: Header=BB6_2731 Depth=1
	s_or_b64 exec, exec, s[18:19]
	s_waitcnt vmcnt(0)
	global_load_dwordx2 v[6:7], v[2:3], off offset:16
	s_waitcnt vmcnt(0)
	v_cmp_eq_u64_e32 vcc, 0, v[6:7]
	s_cbranch_vccnz .LBB6_2803
; %bb.2802:                             ;   in Loop: Header=BB6_2731 Depth=1
	global_load_dword v25, v[2:3], off offset:24
	s_waitcnt vmcnt(0)
	v_readfirstlane_b32 s18, v25
	s_and_b32 m0, s18, 0xffffff
	global_store_dwordx2 v[6:7], v[25:26], off
	s_sendmsg sendmsg(MSG_INTERRUPT)
.LBB6_2803:                             ;   in Loop: Header=BB6_2731 Depth=1
	s_or_b64 exec, exec, s[16:17]
	v_add_co_u32_e32 v2, vcc, v24, v29
	v_addc_co_u32_e32 v3, vcc, 0, v31, vcc
	s_branch .LBB6_2807
.LBB6_2804:                             ;   in Loop: Header=BB6_2807 Depth=2
	s_or_b64 exec, exec, s[16:17]
	v_readfirstlane_b32 s16, v6
	s_cmp_eq_u32 s16, 0
	s_cbranch_scc1 .LBB6_2806
; %bb.2805:                             ;   in Loop: Header=BB6_2807 Depth=2
	s_sleep 1
	s_cbranch_execnz .LBB6_2807
	s_branch .LBB6_2809
.LBB6_2806:                             ;   in Loop: Header=BB6_2731 Depth=1
	s_branch .LBB6_2809
.LBB6_2807:                             ;   Parent Loop BB6_2731 Depth=1
                                        ; =>  This Inner Loop Header: Depth=2
	v_mov_b32_e32 v6, 1
	s_and_saveexec_b64 s[16:17], s[4:5]
	s_cbranch_execz .LBB6_2804
; %bb.2808:                             ;   in Loop: Header=BB6_2807 Depth=2
	global_load_dword v6, v[27:28], off offset:20 glc
	s_waitcnt vmcnt(0)
	buffer_wbinvl1_vol
	v_and_b32_e32 v6, 1, v6
	s_branch .LBB6_2804
.LBB6_2809:                             ;   in Loop: Header=BB6_2731 Depth=1
	global_load_dwordx4 v[6:9], v[2:3], off
	s_and_saveexec_b64 s[16:17], s[4:5]
	s_cbranch_execz .LBB6_2730
; %bb.2810:                             ;   in Loop: Header=BB6_2731 Depth=1
	global_load_dwordx2 v[2:3], v26, s[6:7] offset:40
	global_load_dwordx2 v[12:13], v26, s[6:7] offset:24 glc
	global_load_dwordx2 v[8:9], v26, s[6:7]
	s_waitcnt vmcnt(2)
	v_readfirstlane_b32 s18, v2
	v_readfirstlane_b32 s19, v3
	s_add_u32 s20, s18, 1
	s_addc_u32 s21, s19, 0
	s_add_u32 s4, s20, s14
	s_addc_u32 s5, s21, s15
	s_cmp_eq_u64 s[4:5], 0
	s_cselect_b32 s5, s21, s5
	s_cselect_b32 s4, s20, s4
	s_and_b64 s[14:15], s[4:5], s[18:19]
	s_mul_i32 s15, s15, 24
	s_mul_hi_u32 s18, s14, 24
	s_mul_i32 s14, s14, 24
	s_add_i32 s15, s18, s15
	v_mov_b32_e32 v3, s15
	s_waitcnt vmcnt(0)
	v_add_co_u32_e32 v2, vcc, s14, v8
	v_addc_co_u32_e32 v3, vcc, v9, v3, vcc
	v_mov_b32_e32 v10, s4
	global_store_dwordx2 v[2:3], v[12:13], off
	v_mov_b32_e32 v11, s5
	s_waitcnt vmcnt(0)
	global_atomic_cmpswap_x2 v[10:11], v26, v[10:13], s[6:7] offset:24 glc
	s_waitcnt vmcnt(0)
	v_cmp_ne_u64_e32 vcc, v[10:11], v[12:13]
	s_and_b64 exec, exec, vcc
	s_cbranch_execz .LBB6_2730
; %bb.2811:                             ;   in Loop: Header=BB6_2731 Depth=1
	s_mov_b64 s[14:15], 0
.LBB6_2812:                             ;   Parent Loop BB6_2731 Depth=1
                                        ; =>  This Inner Loop Header: Depth=2
	s_sleep 1
	global_store_dwordx2 v[2:3], v[10:11], off
	v_mov_b32_e32 v8, s4
	v_mov_b32_e32 v9, s5
	s_waitcnt vmcnt(0)
	global_atomic_cmpswap_x2 v[8:9], v26, v[8:11], s[6:7] offset:24 glc
	s_waitcnt vmcnt(0)
	v_cmp_eq_u64_e32 vcc, v[8:9], v[10:11]
	v_mov_b32_e32 v11, v9
	s_or_b64 s[14:15], vcc, s[14:15]
	v_mov_b32_e32 v10, v8
	s_andn2_b64 exec, exec, s[14:15]
	s_cbranch_execnz .LBB6_2812
	s_branch .LBB6_2730
.LBB6_2813:
	s_mov_b64 s[4:5], 0
	s_branch .LBB6_2815
.LBB6_2814:
	s_mov_b64 s[4:5], -1
.LBB6_2815:
	s_and_b64 vcc, exec, s[4:5]
	s_cbranch_vccz .LBB6_2842
; %bb.2816:
	v_readfirstlane_b32 s4, v30
	s_waitcnt vmcnt(0)
	v_mov_b32_e32 v8, 0
	v_mov_b32_e32 v9, 0
	v_cmp_eq_u32_e64 s[4:5], s4, v30
	s_and_saveexec_b64 s[8:9], s[4:5]
	s_cbranch_execz .LBB6_2822
; %bb.2817:
	v_mov_b32_e32 v2, 0
	global_load_dwordx2 v[5:6], v2, s[6:7] offset:24 glc
	s_waitcnt vmcnt(0)
	buffer_wbinvl1_vol
	global_load_dwordx2 v[3:4], v2, s[6:7] offset:40
	global_load_dwordx2 v[7:8], v2, s[6:7]
	s_waitcnt vmcnt(1)
	v_and_b32_e32 v3, v3, v5
	v_and_b32_e32 v4, v4, v6
	v_mul_lo_u32 v4, v4, 24
	v_mul_hi_u32 v9, v3, 24
	v_mul_lo_u32 v3, v3, 24
	v_add_u32_e32 v4, v9, v4
	s_waitcnt vmcnt(0)
	v_add_co_u32_e32 v3, vcc, v7, v3
	v_addc_co_u32_e32 v4, vcc, v8, v4, vcc
	global_load_dwordx2 v[3:4], v[3:4], off glc
	s_waitcnt vmcnt(0)
	global_atomic_cmpswap_x2 v[8:9], v2, v[3:6], s[6:7] offset:24 glc
	s_waitcnt vmcnt(0)
	buffer_wbinvl1_vol
	v_cmp_ne_u64_e32 vcc, v[8:9], v[5:6]
	s_and_saveexec_b64 s[10:11], vcc
	s_cbranch_execz .LBB6_2821
; %bb.2818:
	s_mov_b64 s[12:13], 0
.LBB6_2819:                             ; =>This Inner Loop Header: Depth=1
	s_sleep 1
	global_load_dwordx2 v[3:4], v2, s[6:7] offset:40
	global_load_dwordx2 v[10:11], v2, s[6:7]
	v_mov_b32_e32 v5, v8
	v_mov_b32_e32 v6, v9
	s_waitcnt vmcnt(1)
	v_and_b32_e32 v3, v3, v5
	s_waitcnt vmcnt(0)
	v_mad_u64_u32 v[7:8], s[14:15], v3, 24, v[10:11]
	v_and_b32_e32 v4, v4, v6
	v_mov_b32_e32 v3, v8
	v_mad_u64_u32 v[3:4], s[14:15], v4, 24, v[3:4]
	v_mov_b32_e32 v8, v3
	global_load_dwordx2 v[3:4], v[7:8], off glc
	s_waitcnt vmcnt(0)
	global_atomic_cmpswap_x2 v[8:9], v2, v[3:6], s[6:7] offset:24 glc
	s_waitcnt vmcnt(0)
	buffer_wbinvl1_vol
	v_cmp_eq_u64_e32 vcc, v[8:9], v[5:6]
	s_or_b64 s[12:13], vcc, s[12:13]
	s_andn2_b64 exec, exec, s[12:13]
	s_cbranch_execnz .LBB6_2819
; %bb.2820:
	s_or_b64 exec, exec, s[12:13]
.LBB6_2821:
	s_or_b64 exec, exec, s[10:11]
.LBB6_2822:
	s_or_b64 exec, exec, s[8:9]
	v_mov_b32_e32 v2, 0
	global_load_dwordx2 v[10:11], v2, s[6:7] offset:40
	global_load_dwordx4 v[4:7], v2, s[6:7]
	v_readfirstlane_b32 s9, v9
	v_readfirstlane_b32 s8, v8
	s_mov_b64 s[10:11], exec
	s_waitcnt vmcnt(1)
	v_readfirstlane_b32 s12, v10
	v_readfirstlane_b32 s13, v11
	s_and_b64 s[12:13], s[12:13], s[8:9]
	s_mul_i32 s14, s13, 24
	s_mul_hi_u32 s15, s12, 24
	s_mul_i32 s16, s12, 24
	s_add_i32 s14, s15, s14
	v_mov_b32_e32 v3, s14
	s_waitcnt vmcnt(0)
	v_add_co_u32_e32 v8, vcc, s16, v4
	v_addc_co_u32_e32 v9, vcc, v5, v3, vcc
	s_and_saveexec_b64 s[14:15], s[4:5]
	s_cbranch_execz .LBB6_2824
; %bb.2823:
	v_mov_b32_e32 v10, s10
	v_mov_b32_e32 v11, s11
	;; [unrolled: 1-line block ×4, first 2 shown]
	global_store_dwordx4 v[8:9], v[10:13], off offset:8
.LBB6_2824:
	s_or_b64 exec, exec, s[14:15]
	s_lshl_b64 s[10:11], s[12:13], 12
	v_mov_b32_e32 v3, s11
	v_add_co_u32_e32 v6, vcc, s10, v6
	v_addc_co_u32_e32 v7, vcc, v7, v3, vcc
	s_movk_i32 s10, 0xff1d
	v_and_or_b32 v0, v0, s10, 34
	s_mov_b32 s12, 0
	v_mov_b32_e32 v3, v2
	v_readfirstlane_b32 s10, v6
	v_readfirstlane_b32 s11, v7
	s_mov_b32 s13, s12
	s_mov_b32 s14, s12
	;; [unrolled: 1-line block ×3, first 2 shown]
	s_nop 1
	global_store_dwordx4 v29, v[0:3], s[10:11]
	s_nop 0
	v_mov_b32_e32 v0, s12
	v_mov_b32_e32 v1, s13
	;; [unrolled: 1-line block ×4, first 2 shown]
	global_store_dwordx4 v29, v[0:3], s[10:11] offset:16
	global_store_dwordx4 v29, v[0:3], s[10:11] offset:32
	;; [unrolled: 1-line block ×3, first 2 shown]
	s_and_saveexec_b64 s[10:11], s[4:5]
	s_cbranch_execz .LBB6_2832
; %bb.2825:
	v_mov_b32_e32 v6, 0
	global_load_dwordx2 v[12:13], v6, s[6:7] offset:32 glc
	global_load_dwordx2 v[0:1], v6, s[6:7] offset:40
	v_mov_b32_e32 v10, s8
	v_mov_b32_e32 v11, s9
	s_waitcnt vmcnt(0)
	v_readfirstlane_b32 s12, v0
	v_readfirstlane_b32 s13, v1
	s_and_b64 s[12:13], s[12:13], s[8:9]
	s_mul_i32 s13, s13, 24
	s_mul_hi_u32 s14, s12, 24
	s_mul_i32 s12, s12, 24
	s_add_i32 s13, s14, s13
	v_mov_b32_e32 v0, s13
	v_add_co_u32_e32 v4, vcc, s12, v4
	v_addc_co_u32_e32 v5, vcc, v5, v0, vcc
	global_store_dwordx2 v[4:5], v[12:13], off
	s_waitcnt vmcnt(0)
	global_atomic_cmpswap_x2 v[2:3], v6, v[10:13], s[6:7] offset:32 glc
	s_waitcnt vmcnt(0)
	v_cmp_ne_u64_e32 vcc, v[2:3], v[12:13]
	s_and_saveexec_b64 s[12:13], vcc
	s_cbranch_execz .LBB6_2828
; %bb.2826:
	s_mov_b64 s[14:15], 0
.LBB6_2827:                             ; =>This Inner Loop Header: Depth=1
	s_sleep 1
	global_store_dwordx2 v[4:5], v[2:3], off
	v_mov_b32_e32 v0, s8
	v_mov_b32_e32 v1, s9
	s_waitcnt vmcnt(0)
	global_atomic_cmpswap_x2 v[0:1], v6, v[0:3], s[6:7] offset:32 glc
	s_waitcnt vmcnt(0)
	v_cmp_eq_u64_e32 vcc, v[0:1], v[2:3]
	v_mov_b32_e32 v3, v1
	s_or_b64 s[14:15], vcc, s[14:15]
	v_mov_b32_e32 v2, v0
	s_andn2_b64 exec, exec, s[14:15]
	s_cbranch_execnz .LBB6_2827
.LBB6_2828:
	s_or_b64 exec, exec, s[12:13]
	v_mov_b32_e32 v3, 0
	global_load_dwordx2 v[0:1], v3, s[6:7] offset:16
	s_mov_b64 s[12:13], exec
	v_mbcnt_lo_u32_b32 v2, s12, 0
	v_mbcnt_hi_u32_b32 v2, s13, v2
	v_cmp_eq_u32_e32 vcc, 0, v2
	s_and_saveexec_b64 s[14:15], vcc
	s_cbranch_execz .LBB6_2830
; %bb.2829:
	s_bcnt1_i32_b64 s12, s[12:13]
	v_mov_b32_e32 v2, s12
	s_waitcnt vmcnt(0)
	global_atomic_add_x2 v[0:1], v[2:3], off offset:8
.LBB6_2830:
	s_or_b64 exec, exec, s[14:15]
	s_waitcnt vmcnt(0)
	global_load_dwordx2 v[2:3], v[0:1], off offset:16
	s_waitcnt vmcnt(0)
	v_cmp_eq_u64_e32 vcc, 0, v[2:3]
	s_cbranch_vccnz .LBB6_2832
; %bb.2831:
	global_load_dword v0, v[0:1], off offset:24
	v_mov_b32_e32 v1, 0
	s_waitcnt vmcnt(0)
	v_readfirstlane_b32 s12, v0
	s_and_b32 m0, s12, 0xffffff
	global_store_dwordx2 v[2:3], v[0:1], off
	s_sendmsg sendmsg(MSG_INTERRUPT)
.LBB6_2832:
	s_or_b64 exec, exec, s[10:11]
	s_branch .LBB6_2836
.LBB6_2833:                             ;   in Loop: Header=BB6_2836 Depth=1
	s_or_b64 exec, exec, s[10:11]
	v_readfirstlane_b32 s10, v0
	s_cmp_eq_u32 s10, 0
	s_cbranch_scc1 .LBB6_2835
; %bb.2834:                             ;   in Loop: Header=BB6_2836 Depth=1
	s_sleep 1
	s_cbranch_execnz .LBB6_2836
	s_branch .LBB6_2838
.LBB6_2835:
	s_branch .LBB6_2838
.LBB6_2836:                             ; =>This Inner Loop Header: Depth=1
	v_mov_b32_e32 v0, 1
	s_and_saveexec_b64 s[10:11], s[4:5]
	s_cbranch_execz .LBB6_2833
; %bb.2837:                             ;   in Loop: Header=BB6_2836 Depth=1
	global_load_dword v0, v[8:9], off offset:20 glc
	s_waitcnt vmcnt(0)
	buffer_wbinvl1_vol
	v_and_b32_e32 v0, 1, v0
	s_branch .LBB6_2833
.LBB6_2838:
	s_and_saveexec_b64 s[10:11], s[4:5]
	s_cbranch_execz .LBB6_2841
; %bb.2839:
	v_mov_b32_e32 v6, 0
	global_load_dwordx2 v[0:1], v6, s[6:7] offset:40
	global_load_dwordx2 v[9:10], v6, s[6:7] offset:24 glc
	global_load_dwordx2 v[2:3], v6, s[6:7]
	s_waitcnt vmcnt(2)
	v_readfirstlane_b32 s12, v0
	v_readfirstlane_b32 s13, v1
	s_add_u32 s14, s12, 1
	s_addc_u32 s15, s13, 0
	s_add_u32 s4, s14, s8
	s_addc_u32 s5, s15, s9
	s_cmp_eq_u64 s[4:5], 0
	s_cselect_b32 s5, s15, s5
	s_cselect_b32 s4, s14, s4
	s_and_b64 s[8:9], s[4:5], s[12:13]
	s_mul_i32 s9, s9, 24
	s_mul_hi_u32 s12, s8, 24
	s_mul_i32 s8, s8, 24
	s_add_i32 s9, s12, s9
	v_mov_b32_e32 v0, s9
	s_waitcnt vmcnt(0)
	v_add_co_u32_e32 v4, vcc, s8, v2
	v_addc_co_u32_e32 v5, vcc, v3, v0, vcc
	v_mov_b32_e32 v7, s4
	global_store_dwordx2 v[4:5], v[9:10], off
	v_mov_b32_e32 v8, s5
	s_waitcnt vmcnt(0)
	global_atomic_cmpswap_x2 v[2:3], v6, v[7:10], s[6:7] offset:24 glc
	s_mov_b64 s[8:9], 0
	s_waitcnt vmcnt(0)
	v_cmp_ne_u64_e32 vcc, v[2:3], v[9:10]
	s_and_b64 exec, exec, vcc
	s_cbranch_execz .LBB6_2841
.LBB6_2840:                             ; =>This Inner Loop Header: Depth=1
	s_sleep 1
	global_store_dwordx2 v[4:5], v[2:3], off
	v_mov_b32_e32 v0, s4
	v_mov_b32_e32 v1, s5
	s_waitcnt vmcnt(0)
	global_atomic_cmpswap_x2 v[0:1], v6, v[0:3], s[6:7] offset:24 glc
	s_waitcnt vmcnt(0)
	v_cmp_eq_u64_e32 vcc, v[0:1], v[2:3]
	v_mov_b32_e32 v3, v1
	s_or_b64 s[8:9], vcc, s[8:9]
	v_mov_b32_e32 v2, v0
	s_andn2_b64 exec, exec, s[8:9]
	s_cbranch_execnz .LBB6_2840
.LBB6_2841:
	s_or_b64 exec, exec, s[10:11]
.LBB6_2842:
	s_getpc_b64 s[4:5]
	s_add_u32 s4, s4, .str.29@rel32@lo+4
	s_addc_u32 s5, s5, .str.29@rel32@hi+12
	s_getpc_b64 s[6:7]
	s_add_u32 s6, s6, .str.19@rel32@lo+4
	s_addc_u32 s7, s7, .str.19@rel32@hi+12
	s_getpc_b64 s[10:11]
	s_add_u32 s10, s10, __PRETTY_FUNCTION__._ZN7VecsMemIjLi8192EE5fetchEi@rel32@lo+4
	s_addc_u32 s11, s11, __PRETTY_FUNCTION__._ZN7VecsMemIjLi8192EE5fetchEi@rel32@hi+12
	s_getpc_b64 s[12:13]
	s_add_u32 s12, s12, __assert_fail@rel32@lo+4
	s_addc_u32 s13, s13, __assert_fail@rel32@hi+12
	s_mov_b64 s[8:9], s[64:65]
	s_waitcnt vmcnt(0)
	v_mov_b32_e32 v0, s4
	v_mov_b32_e32 v1, s5
	;; [unrolled: 1-line block ×7, first 2 shown]
	s_swappc_b64 s[30:31], s[12:13]
	s_or_b64 s[28:29], s[28:29], exec
.LBB6_2843:
	s_or_b64 exec, exec, s[26:27]
	s_andn2_b64 s[4:5], s[70:71], exec
	s_and_b64 s[6:7], s[28:29], exec
	s_or_b64 s[26:27], s[4:5], s[6:7]
.LBB6_2844:
	s_andn2_saveexec_b64 s[28:29], s[44:45]
	s_cbranch_execz .LBB6_2846
; %bb.2845:
	s_getpc_b64 s[4:5]
	s_add_u32 s4, s4, .str.38@rel32@lo+4
	s_addc_u32 s5, s5, .str.38@rel32@hi+12
	s_getpc_b64 s[6:7]
	s_add_u32 s6, s6, .str.31@rel32@lo+4
	s_addc_u32 s7, s7, .str.31@rel32@hi+12
	s_getpc_b64 s[10:11]
	s_add_u32 s10, s10, __PRETTY_FUNCTION__._ZN3sop17sopDivideInternalEPNS_3SopES1_S1_S1_P7VecsMemIjLi8192EE@rel32@lo+4
	s_addc_u32 s11, s11, __PRETTY_FUNCTION__._ZN3sop17sopDivideInternalEPNS_3SopES1_S1_S1_P7VecsMemIjLi8192EE@rel32@hi+12
	s_getpc_b64 s[12:13]
	s_add_u32 s12, s12, __assert_fail@rel32@lo+4
	s_addc_u32 s13, s13, __assert_fail@rel32@hi+12
	s_mov_b64 s[8:9], s[64:65]
	v_mov_b32_e32 v0, s4
	v_mov_b32_e32 v1, s5
	;; [unrolled: 1-line block ×7, first 2 shown]
	s_swappc_b64 s[30:31], s[12:13]
	s_or_b64 s[26:27], s[26:27], exec
.LBB6_2846:
	s_or_b64 exec, exec, s[28:29]
	s_andn2_b64 s[4:5], s[70:71], exec
	s_and_b64 s[6:7], s[26:27], exec
	s_or_b64 s[84:85], s[4:5], s[6:7]
                                        ; implicit-def: $vgpr53_vgpr54
                                        ; implicit-def: $vgpr42
                                        ; implicit-def: $vgpr47
.LBB6_2847:
	s_andn2_saveexec_b64 s[86:87], s[42:43]
	s_cbranch_execz .LBB6_2849
; %bb.2848:
	flat_load_dwordx3 v[5:7], v[53:54] offset:4
	s_getpc_b64 s[4:5]
	s_add_u32 s4, s4, _ZN3sop19sopFactorTrivialRecEPjiiPN8subgUtil4SubgILi256EEE@rel32@lo+4
	s_addc_u32 s5, s5, _ZN3sop19sopFactorTrivialRecEPjiiPN8subgUtil4SubgILi256EEE@rel32@hi+12
	s_mov_b64 s[8:9], s[64:65]
	v_mov_b32_e32 v3, v47
	v_mov_b32_e32 v4, v42
	s_waitcnt vmcnt(0) lgkmcnt(0)
	v_mov_b32_e32 v0, v6
	v_mov_b32_e32 v1, v7
	;; [unrolled: 1-line block ×4, first 2 shown]
	s_swappc_b64 s[30:31], s[4:5]
	v_mov_b32_e32 v41, v0
.LBB6_2849:
	s_or_b64 exec, exec, s[86:87]
	s_andn2_b64 s[4:5], s[70:71], exec
	s_and_b64 s[6:7], s[84:85], exec
	s_or_b64 s[70:71], s[4:5], s[6:7]
.LBB6_2850:
	s_or_b64 exec, exec, s[82:83]
	s_and_saveexec_b64 s[4:5], s[80:81]
	s_xor_b64 s[26:27], exec, s[4:5]
	s_cbranch_execz .LBB6_2990
; %bb.2851:
	s_load_dwordx2 s[6:7], s[64:65], 0x50
	v_mbcnt_lo_u32_b32 v0, -1, 0
	v_mbcnt_hi_u32_b32 v30, -1, v0
	v_readfirstlane_b32 s4, v30
	v_mov_b32_e32 v5, 0
	v_mov_b32_e32 v6, 0
	v_cmp_eq_u32_e64 s[4:5], s4, v30
	s_and_saveexec_b64 s[8:9], s[4:5]
	s_cbranch_execz .LBB6_2857
; %bb.2852:
	v_mov_b32_e32 v0, 0
	s_waitcnt lgkmcnt(0)
	global_load_dwordx2 v[3:4], v0, s[6:7] offset:24 glc
	s_waitcnt vmcnt(0)
	buffer_wbinvl1_vol
	global_load_dwordx2 v[1:2], v0, s[6:7] offset:40
	global_load_dwordx2 v[5:6], v0, s[6:7]
	s_waitcnt vmcnt(1)
	v_and_b32_e32 v1, v1, v3
	v_and_b32_e32 v2, v2, v4
	v_mul_lo_u32 v2, v2, 24
	v_mul_hi_u32 v7, v1, 24
	v_mul_lo_u32 v1, v1, 24
	v_add_u32_e32 v2, v7, v2
	s_waitcnt vmcnt(0)
	v_add_co_u32_e32 v1, vcc, v5, v1
	v_addc_co_u32_e32 v2, vcc, v6, v2, vcc
	global_load_dwordx2 v[1:2], v[1:2], off glc
	s_waitcnt vmcnt(0)
	global_atomic_cmpswap_x2 v[5:6], v0, v[1:4], s[6:7] offset:24 glc
	s_waitcnt vmcnt(0)
	buffer_wbinvl1_vol
	v_cmp_ne_u64_e32 vcc, v[5:6], v[3:4]
	s_and_saveexec_b64 s[10:11], vcc
	s_cbranch_execz .LBB6_2856
; %bb.2853:
	s_mov_b64 s[12:13], 0
.LBB6_2854:                             ; =>This Inner Loop Header: Depth=1
	s_sleep 1
	global_load_dwordx2 v[1:2], v0, s[6:7] offset:40
	global_load_dwordx2 v[7:8], v0, s[6:7]
	v_mov_b32_e32 v3, v5
	v_mov_b32_e32 v4, v6
	s_waitcnt vmcnt(1)
	v_and_b32_e32 v1, v1, v3
	s_waitcnt vmcnt(0)
	v_mad_u64_u32 v[5:6], s[14:15], v1, 24, v[7:8]
	v_and_b32_e32 v2, v2, v4
	v_mov_b32_e32 v1, v6
	v_mad_u64_u32 v[1:2], s[14:15], v2, 24, v[1:2]
	v_mov_b32_e32 v6, v1
	global_load_dwordx2 v[1:2], v[5:6], off glc
	s_waitcnt vmcnt(0)
	global_atomic_cmpswap_x2 v[5:6], v0, v[1:4], s[6:7] offset:24 glc
	s_waitcnt vmcnt(0)
	buffer_wbinvl1_vol
	v_cmp_eq_u64_e32 vcc, v[5:6], v[3:4]
	s_or_b64 s[12:13], vcc, s[12:13]
	s_andn2_b64 exec, exec, s[12:13]
	s_cbranch_execnz .LBB6_2854
; %bb.2855:
	s_or_b64 exec, exec, s[12:13]
.LBB6_2856:
	s_or_b64 exec, exec, s[10:11]
.LBB6_2857:
	s_or_b64 exec, exec, s[8:9]
	v_mov_b32_e32 v4, 0
	s_waitcnt lgkmcnt(0)
	global_load_dwordx2 v[7:8], v4, s[6:7] offset:40
	global_load_dwordx4 v[0:3], v4, s[6:7]
	v_readfirstlane_b32 s9, v6
	v_readfirstlane_b32 s8, v5
	s_mov_b64 s[10:11], exec
	s_waitcnt vmcnt(0)
	v_readfirstlane_b32 s12, v7
	v_readfirstlane_b32 s13, v8
	s_and_b64 s[12:13], s[12:13], s[8:9]
	s_mul_i32 s14, s13, 24
	s_mul_hi_u32 s15, s12, 24
	s_mul_i32 s16, s12, 24
	s_add_i32 s14, s15, s14
	v_mov_b32_e32 v5, s14
	v_add_co_u32_e32 v7, vcc, s16, v0
	v_addc_co_u32_e32 v8, vcc, v1, v5, vcc
	s_and_saveexec_b64 s[14:15], s[4:5]
	s_cbranch_execz .LBB6_2859
; %bb.2858:
	v_mov_b32_e32 v9, s10
	v_mov_b32_e32 v10, s11
	;; [unrolled: 1-line block ×4, first 2 shown]
	global_store_dwordx4 v[7:8], v[9:12], off offset:8
.LBB6_2859:
	s_or_b64 exec, exec, s[14:15]
	s_lshl_b64 s[10:11], s[12:13], 12
	v_mov_b32_e32 v5, s11
	v_add_co_u32_e32 v2, vcc, s10, v2
	v_addc_co_u32_e32 v11, vcc, v3, v5, vcc
	v_lshlrev_b32_e32 v29, 6, v30
	s_mov_b32 s12, 0
	v_mov_b32_e32 v3, 33
	v_mov_b32_e32 v5, v4
	;; [unrolled: 1-line block ×3, first 2 shown]
	v_readfirstlane_b32 s10, v2
	v_readfirstlane_b32 s11, v11
	v_add_co_u32_e32 v9, vcc, v2, v29
	s_mov_b32 s13, s12
	s_mov_b32 s14, s12
	s_mov_b32 s15, s12
	s_nop 0
	global_store_dwordx4 v29, v[3:6], s[10:11]
	v_mov_b32_e32 v2, s12
	v_addc_co_u32_e32 v10, vcc, 0, v11, vcc
	v_mov_b32_e32 v3, s13
	v_mov_b32_e32 v4, s14
	;; [unrolled: 1-line block ×3, first 2 shown]
	global_store_dwordx4 v29, v[2:5], s[10:11] offset:16
	global_store_dwordx4 v29, v[2:5], s[10:11] offset:32
	;; [unrolled: 1-line block ×3, first 2 shown]
	s_and_saveexec_b64 s[10:11], s[4:5]
	s_cbranch_execz .LBB6_2867
; %bb.2860:
	v_mov_b32_e32 v6, 0
	global_load_dwordx2 v[13:14], v6, s[6:7] offset:32 glc
	global_load_dwordx2 v[2:3], v6, s[6:7] offset:40
	v_mov_b32_e32 v11, s8
	v_mov_b32_e32 v12, s9
	s_waitcnt vmcnt(0)
	v_and_b32_e32 v2, s8, v2
	v_and_b32_e32 v3, s9, v3
	v_mul_lo_u32 v3, v3, 24
	v_mul_hi_u32 v4, v2, 24
	v_mul_lo_u32 v2, v2, 24
	v_add_u32_e32 v3, v4, v3
	v_add_co_u32_e32 v4, vcc, v0, v2
	v_addc_co_u32_e32 v5, vcc, v1, v3, vcc
	global_store_dwordx2 v[4:5], v[13:14], off
	s_waitcnt vmcnt(0)
	global_atomic_cmpswap_x2 v[2:3], v6, v[11:14], s[6:7] offset:32 glc
	s_waitcnt vmcnt(0)
	v_cmp_ne_u64_e32 vcc, v[2:3], v[13:14]
	s_and_saveexec_b64 s[12:13], vcc
	s_cbranch_execz .LBB6_2863
; %bb.2861:
	s_mov_b64 s[14:15], 0
.LBB6_2862:                             ; =>This Inner Loop Header: Depth=1
	s_sleep 1
	global_store_dwordx2 v[4:5], v[2:3], off
	v_mov_b32_e32 v0, s8
	v_mov_b32_e32 v1, s9
	s_waitcnt vmcnt(0)
	global_atomic_cmpswap_x2 v[0:1], v6, v[0:3], s[6:7] offset:32 glc
	s_waitcnt vmcnt(0)
	v_cmp_eq_u64_e32 vcc, v[0:1], v[2:3]
	v_mov_b32_e32 v3, v1
	s_or_b64 s[14:15], vcc, s[14:15]
	v_mov_b32_e32 v2, v0
	s_andn2_b64 exec, exec, s[14:15]
	s_cbranch_execnz .LBB6_2862
.LBB6_2863:
	s_or_b64 exec, exec, s[12:13]
	v_mov_b32_e32 v3, 0
	global_load_dwordx2 v[0:1], v3, s[6:7] offset:16
	s_mov_b64 s[12:13], exec
	v_mbcnt_lo_u32_b32 v2, s12, 0
	v_mbcnt_hi_u32_b32 v2, s13, v2
	v_cmp_eq_u32_e32 vcc, 0, v2
	s_and_saveexec_b64 s[14:15], vcc
	s_cbranch_execz .LBB6_2865
; %bb.2864:
	s_bcnt1_i32_b64 s12, s[12:13]
	v_mov_b32_e32 v2, s12
	s_waitcnt vmcnt(0)
	global_atomic_add_x2 v[0:1], v[2:3], off offset:8
.LBB6_2865:
	s_or_b64 exec, exec, s[14:15]
	s_waitcnt vmcnt(0)
	global_load_dwordx2 v[2:3], v[0:1], off offset:16
	s_waitcnt vmcnt(0)
	v_cmp_eq_u64_e32 vcc, 0, v[2:3]
	s_cbranch_vccnz .LBB6_2867
; %bb.2866:
	global_load_dword v0, v[0:1], off offset:24
	v_mov_b32_e32 v1, 0
	s_waitcnt vmcnt(0)
	v_readfirstlane_b32 s12, v0
	s_and_b32 m0, s12, 0xffffff
	global_store_dwordx2 v[2:3], v[0:1], off
	s_sendmsg sendmsg(MSG_INTERRUPT)
.LBB6_2867:
	s_or_b64 exec, exec, s[10:11]
	s_branch .LBB6_2871
.LBB6_2868:                             ;   in Loop: Header=BB6_2871 Depth=1
	s_or_b64 exec, exec, s[10:11]
	v_readfirstlane_b32 s10, v0
	s_cmp_eq_u32 s10, 0
	s_cbranch_scc1 .LBB6_2870
; %bb.2869:                             ;   in Loop: Header=BB6_2871 Depth=1
	s_sleep 1
	s_cbranch_execnz .LBB6_2871
	s_branch .LBB6_2873
.LBB6_2870:
	s_branch .LBB6_2873
.LBB6_2871:                             ; =>This Inner Loop Header: Depth=1
	v_mov_b32_e32 v0, 1
	s_and_saveexec_b64 s[10:11], s[4:5]
	s_cbranch_execz .LBB6_2868
; %bb.2872:                             ;   in Loop: Header=BB6_2871 Depth=1
	global_load_dword v0, v[7:8], off offset:20 glc
	s_waitcnt vmcnt(0)
	buffer_wbinvl1_vol
	v_and_b32_e32 v0, 1, v0
	s_branch .LBB6_2868
.LBB6_2873:
	global_load_dwordx2 v[0:1], v[9:10], off
	s_and_saveexec_b64 s[10:11], s[4:5]
	s_cbranch_execz .LBB6_2876
; %bb.2874:
	v_mov_b32_e32 v8, 0
	global_load_dwordx2 v[2:3], v8, s[6:7] offset:40
	global_load_dwordx2 v[11:12], v8, s[6:7] offset:24 glc
	global_load_dwordx2 v[4:5], v8, s[6:7]
	s_waitcnt vmcnt(2)
	v_readfirstlane_b32 s12, v2
	v_readfirstlane_b32 s13, v3
	s_add_u32 s14, s12, 1
	s_addc_u32 s15, s13, 0
	s_add_u32 s4, s14, s8
	s_addc_u32 s5, s15, s9
	s_cmp_eq_u64 s[4:5], 0
	s_cselect_b32 s5, s15, s5
	s_cselect_b32 s4, s14, s4
	s_and_b64 s[8:9], s[4:5], s[12:13]
	s_mul_i32 s9, s9, 24
	s_mul_hi_u32 s12, s8, 24
	s_mul_i32 s8, s8, 24
	s_add_i32 s9, s12, s9
	v_mov_b32_e32 v2, s9
	s_waitcnt vmcnt(0)
	v_add_co_u32_e32 v6, vcc, s8, v4
	v_addc_co_u32_e32 v7, vcc, v5, v2, vcc
	v_mov_b32_e32 v9, s4
	global_store_dwordx2 v[6:7], v[11:12], off
	v_mov_b32_e32 v10, s5
	s_waitcnt vmcnt(0)
	global_atomic_cmpswap_x2 v[4:5], v8, v[9:12], s[6:7] offset:24 glc
	s_mov_b64 s[8:9], 0
	s_waitcnt vmcnt(0)
	v_cmp_ne_u64_e32 vcc, v[4:5], v[11:12]
	s_and_b64 exec, exec, vcc
	s_cbranch_execz .LBB6_2876
.LBB6_2875:                             ; =>This Inner Loop Header: Depth=1
	s_sleep 1
	global_store_dwordx2 v[6:7], v[4:5], off
	v_mov_b32_e32 v2, s4
	v_mov_b32_e32 v3, s5
	s_waitcnt vmcnt(0)
	global_atomic_cmpswap_x2 v[2:3], v8, v[2:5], s[6:7] offset:24 glc
	s_waitcnt vmcnt(0)
	v_cmp_eq_u64_e32 vcc, v[2:3], v[4:5]
	v_mov_b32_e32 v5, v3
	s_or_b64 s[8:9], vcc, s[8:9]
	v_mov_b32_e32 v4, v2
	s_andn2_b64 exec, exec, s[8:9]
	s_cbranch_execnz .LBB6_2875
.LBB6_2876:
	s_or_b64 exec, exec, s[10:11]
	s_getpc_b64 s[8:9]
	s_add_u32 s8, s8, .str.28@rel32@lo+4
	s_addc_u32 s9, s9, .str.28@rel32@hi+12
	s_cmp_lg_u64 s[8:9], 0
	s_cbranch_scc0 .LBB6_2962
; %bb.2877:
	s_waitcnt vmcnt(0)
	v_and_b32_e32 v6, -3, v0
	v_mov_b32_e32 v7, v1
	s_mov_b64 s[10:11], 35
	v_mov_b32_e32 v26, 0
	v_mov_b32_e32 v4, 2
	;; [unrolled: 1-line block ×3, first 2 shown]
	s_branch .LBB6_2879
.LBB6_2878:                             ;   in Loop: Header=BB6_2879 Depth=1
	s_or_b64 exec, exec, s[16:17]
	s_sub_u32 s10, s10, s12
	s_subb_u32 s11, s11, s13
	s_add_u32 s8, s8, s12
	s_addc_u32 s9, s9, s13
	s_cmp_lg_u64 s[10:11], 0
	s_cbranch_scc0 .LBB6_2961
.LBB6_2879:                             ; =>This Loop Header: Depth=1
                                        ;     Child Loop BB6_2882 Depth 2
                                        ;     Child Loop BB6_2890 Depth 2
	;; [unrolled: 1-line block ×11, first 2 shown]
	v_cmp_lt_u64_e64 s[4:5], s[10:11], 56
	v_cmp_gt_u64_e64 s[14:15], s[10:11], 7
	s_and_b64 s[4:5], s[4:5], exec
	s_cselect_b32 s13, s11, 0
	s_cselect_b32 s12, s10, 56
	s_add_u32 s4, s8, 8
	s_addc_u32 s5, s9, 0
	s_and_b64 vcc, exec, s[14:15]
	s_cbranch_vccnz .LBB6_2883
; %bb.2880:                             ;   in Loop: Header=BB6_2879 Depth=1
	s_cmp_eq_u64 s[10:11], 0
	s_cbranch_scc1 .LBB6_2884
; %bb.2881:                             ;   in Loop: Header=BB6_2879 Depth=1
	s_waitcnt vmcnt(0)
	v_mov_b32_e32 v8, 0
	s_lshl_b64 s[4:5], s[12:13], 3
	s_mov_b64 s[14:15], 0
	v_mov_b32_e32 v9, 0
	s_mov_b64 s[16:17], s[8:9]
.LBB6_2882:                             ;   Parent Loop BB6_2879 Depth=1
                                        ; =>  This Inner Loop Header: Depth=2
	global_load_ubyte v2, v26, s[16:17]
	s_waitcnt vmcnt(0)
	v_and_b32_e32 v25, 0xffff, v2
	v_lshlrev_b64 v[2:3], s14, v[25:26]
	s_add_u32 s14, s14, 8
	s_addc_u32 s15, s15, 0
	s_add_u32 s16, s16, 1
	s_addc_u32 s17, s17, 0
	v_or_b32_e32 v8, v2, v8
	s_cmp_lg_u32 s4, s14
	v_or_b32_e32 v9, v3, v9
	s_cbranch_scc1 .LBB6_2882
	s_branch .LBB6_2885
.LBB6_2883:                             ;   in Loop: Header=BB6_2879 Depth=1
	s_mov_b32 s18, 0
	s_branch .LBB6_2886
.LBB6_2884:                             ;   in Loop: Header=BB6_2879 Depth=1
	s_waitcnt vmcnt(0)
	v_mov_b32_e32 v8, 0
	v_mov_b32_e32 v9, 0
.LBB6_2885:                             ;   in Loop: Header=BB6_2879 Depth=1
	s_mov_b64 s[4:5], s[8:9]
	s_mov_b32 s18, 0
	s_cbranch_execnz .LBB6_2887
.LBB6_2886:                             ;   in Loop: Header=BB6_2879 Depth=1
	global_load_dwordx2 v[8:9], v26, s[8:9]
	s_add_i32 s18, s12, -8
.LBB6_2887:                             ;   in Loop: Header=BB6_2879 Depth=1
	s_add_u32 s14, s4, 8
	s_addc_u32 s15, s5, 0
	s_cmp_gt_u32 s18, 7
	s_cbranch_scc1 .LBB6_2891
; %bb.2888:                             ;   in Loop: Header=BB6_2879 Depth=1
	s_cmp_eq_u32 s18, 0
	s_cbranch_scc1 .LBB6_2892
; %bb.2889:                             ;   in Loop: Header=BB6_2879 Depth=1
	v_mov_b32_e32 v10, 0
	s_mov_b64 s[14:15], 0
	v_mov_b32_e32 v11, 0
	s_mov_b64 s[16:17], 0
.LBB6_2890:                             ;   Parent Loop BB6_2879 Depth=1
                                        ; =>  This Inner Loop Header: Depth=2
	s_add_u32 s20, s4, s16
	s_addc_u32 s21, s5, s17
	global_load_ubyte v2, v26, s[20:21]
	s_add_u32 s16, s16, 1
	s_addc_u32 s17, s17, 0
	s_waitcnt vmcnt(0)
	v_and_b32_e32 v25, 0xffff, v2
	v_lshlrev_b64 v[2:3], s14, v[25:26]
	s_add_u32 s14, s14, 8
	s_addc_u32 s15, s15, 0
	v_or_b32_e32 v10, v2, v10
	s_cmp_lg_u32 s18, s16
	v_or_b32_e32 v11, v3, v11
	s_cbranch_scc1 .LBB6_2890
	s_branch .LBB6_2893
.LBB6_2891:                             ;   in Loop: Header=BB6_2879 Depth=1
                                        ; implicit-def: $vgpr10_vgpr11
	s_mov_b32 s19, 0
	s_branch .LBB6_2894
.LBB6_2892:                             ;   in Loop: Header=BB6_2879 Depth=1
	v_mov_b32_e32 v10, 0
	v_mov_b32_e32 v11, 0
.LBB6_2893:                             ;   in Loop: Header=BB6_2879 Depth=1
	s_mov_b64 s[14:15], s[4:5]
	s_mov_b32 s19, 0
	s_cbranch_execnz .LBB6_2895
.LBB6_2894:                             ;   in Loop: Header=BB6_2879 Depth=1
	global_load_dwordx2 v[10:11], v26, s[4:5]
	s_add_i32 s19, s18, -8
.LBB6_2895:                             ;   in Loop: Header=BB6_2879 Depth=1
	s_add_u32 s4, s14, 8
	s_addc_u32 s5, s15, 0
	s_cmp_gt_u32 s19, 7
	s_cbranch_scc1 .LBB6_2899
; %bb.2896:                             ;   in Loop: Header=BB6_2879 Depth=1
	s_cmp_eq_u32 s19, 0
	s_cbranch_scc1 .LBB6_2900
; %bb.2897:                             ;   in Loop: Header=BB6_2879 Depth=1
	v_mov_b32_e32 v12, 0
	s_mov_b64 s[4:5], 0
	v_mov_b32_e32 v13, 0
	s_mov_b64 s[16:17], 0
.LBB6_2898:                             ;   Parent Loop BB6_2879 Depth=1
                                        ; =>  This Inner Loop Header: Depth=2
	s_add_u32 s20, s14, s16
	s_addc_u32 s21, s15, s17
	global_load_ubyte v2, v26, s[20:21]
	s_add_u32 s16, s16, 1
	s_addc_u32 s17, s17, 0
	s_waitcnt vmcnt(0)
	v_and_b32_e32 v25, 0xffff, v2
	v_lshlrev_b64 v[2:3], s4, v[25:26]
	s_add_u32 s4, s4, 8
	s_addc_u32 s5, s5, 0
	v_or_b32_e32 v12, v2, v12
	s_cmp_lg_u32 s19, s16
	v_or_b32_e32 v13, v3, v13
	s_cbranch_scc1 .LBB6_2898
	s_branch .LBB6_2901
.LBB6_2899:                             ;   in Loop: Header=BB6_2879 Depth=1
	s_mov_b32 s18, 0
	s_branch .LBB6_2902
.LBB6_2900:                             ;   in Loop: Header=BB6_2879 Depth=1
	v_mov_b32_e32 v12, 0
	v_mov_b32_e32 v13, 0
.LBB6_2901:                             ;   in Loop: Header=BB6_2879 Depth=1
	s_mov_b64 s[4:5], s[14:15]
	s_mov_b32 s18, 0
	s_cbranch_execnz .LBB6_2903
.LBB6_2902:                             ;   in Loop: Header=BB6_2879 Depth=1
	global_load_dwordx2 v[12:13], v26, s[14:15]
	s_add_i32 s18, s19, -8
.LBB6_2903:                             ;   in Loop: Header=BB6_2879 Depth=1
	s_add_u32 s14, s4, 8
	s_addc_u32 s15, s5, 0
	s_cmp_gt_u32 s18, 7
	s_cbranch_scc1 .LBB6_2907
; %bb.2904:                             ;   in Loop: Header=BB6_2879 Depth=1
	s_cmp_eq_u32 s18, 0
	s_cbranch_scc1 .LBB6_2908
; %bb.2905:                             ;   in Loop: Header=BB6_2879 Depth=1
	v_mov_b32_e32 v14, 0
	s_mov_b64 s[14:15], 0
	v_mov_b32_e32 v15, 0
	s_mov_b64 s[16:17], 0
.LBB6_2906:                             ;   Parent Loop BB6_2879 Depth=1
                                        ; =>  This Inner Loop Header: Depth=2
	s_add_u32 s20, s4, s16
	s_addc_u32 s21, s5, s17
	global_load_ubyte v2, v26, s[20:21]
	s_add_u32 s16, s16, 1
	s_addc_u32 s17, s17, 0
	s_waitcnt vmcnt(0)
	v_and_b32_e32 v25, 0xffff, v2
	v_lshlrev_b64 v[2:3], s14, v[25:26]
	s_add_u32 s14, s14, 8
	s_addc_u32 s15, s15, 0
	v_or_b32_e32 v14, v2, v14
	s_cmp_lg_u32 s18, s16
	v_or_b32_e32 v15, v3, v15
	s_cbranch_scc1 .LBB6_2906
	s_branch .LBB6_2909
.LBB6_2907:                             ;   in Loop: Header=BB6_2879 Depth=1
                                        ; implicit-def: $vgpr14_vgpr15
	s_mov_b32 s19, 0
	s_branch .LBB6_2910
.LBB6_2908:                             ;   in Loop: Header=BB6_2879 Depth=1
	v_mov_b32_e32 v14, 0
	v_mov_b32_e32 v15, 0
.LBB6_2909:                             ;   in Loop: Header=BB6_2879 Depth=1
	s_mov_b64 s[14:15], s[4:5]
	s_mov_b32 s19, 0
	s_cbranch_execnz .LBB6_2911
.LBB6_2910:                             ;   in Loop: Header=BB6_2879 Depth=1
	global_load_dwordx2 v[14:15], v26, s[4:5]
	s_add_i32 s19, s18, -8
.LBB6_2911:                             ;   in Loop: Header=BB6_2879 Depth=1
	s_add_u32 s4, s14, 8
	s_addc_u32 s5, s15, 0
	s_cmp_gt_u32 s19, 7
	s_cbranch_scc1 .LBB6_2915
; %bb.2912:                             ;   in Loop: Header=BB6_2879 Depth=1
	s_cmp_eq_u32 s19, 0
	s_cbranch_scc1 .LBB6_2916
; %bb.2913:                             ;   in Loop: Header=BB6_2879 Depth=1
	v_mov_b32_e32 v16, 0
	s_mov_b64 s[4:5], 0
	v_mov_b32_e32 v17, 0
	s_mov_b64 s[16:17], 0
.LBB6_2914:                             ;   Parent Loop BB6_2879 Depth=1
                                        ; =>  This Inner Loop Header: Depth=2
	s_add_u32 s20, s14, s16
	s_addc_u32 s21, s15, s17
	global_load_ubyte v2, v26, s[20:21]
	s_add_u32 s16, s16, 1
	s_addc_u32 s17, s17, 0
	s_waitcnt vmcnt(0)
	v_and_b32_e32 v25, 0xffff, v2
	v_lshlrev_b64 v[2:3], s4, v[25:26]
	s_add_u32 s4, s4, 8
	s_addc_u32 s5, s5, 0
	v_or_b32_e32 v16, v2, v16
	s_cmp_lg_u32 s19, s16
	v_or_b32_e32 v17, v3, v17
	s_cbranch_scc1 .LBB6_2914
	s_branch .LBB6_2917
.LBB6_2915:                             ;   in Loop: Header=BB6_2879 Depth=1
	s_mov_b32 s18, 0
	s_branch .LBB6_2918
.LBB6_2916:                             ;   in Loop: Header=BB6_2879 Depth=1
	v_mov_b32_e32 v16, 0
	v_mov_b32_e32 v17, 0
.LBB6_2917:                             ;   in Loop: Header=BB6_2879 Depth=1
	s_mov_b64 s[4:5], s[14:15]
	s_mov_b32 s18, 0
	s_cbranch_execnz .LBB6_2919
.LBB6_2918:                             ;   in Loop: Header=BB6_2879 Depth=1
	global_load_dwordx2 v[16:17], v26, s[14:15]
	s_add_i32 s18, s19, -8
.LBB6_2919:                             ;   in Loop: Header=BB6_2879 Depth=1
	s_add_u32 s14, s4, 8
	s_addc_u32 s15, s5, 0
	s_cmp_gt_u32 s18, 7
	s_cbranch_scc1 .LBB6_2923
; %bb.2920:                             ;   in Loop: Header=BB6_2879 Depth=1
	s_cmp_eq_u32 s18, 0
	s_cbranch_scc1 .LBB6_2924
; %bb.2921:                             ;   in Loop: Header=BB6_2879 Depth=1
	v_mov_b32_e32 v18, 0
	s_mov_b64 s[14:15], 0
	v_mov_b32_e32 v19, 0
	s_mov_b64 s[16:17], 0
.LBB6_2922:                             ;   Parent Loop BB6_2879 Depth=1
                                        ; =>  This Inner Loop Header: Depth=2
	s_add_u32 s20, s4, s16
	s_addc_u32 s21, s5, s17
	global_load_ubyte v2, v26, s[20:21]
	s_add_u32 s16, s16, 1
	s_addc_u32 s17, s17, 0
	s_waitcnt vmcnt(0)
	v_and_b32_e32 v25, 0xffff, v2
	v_lshlrev_b64 v[2:3], s14, v[25:26]
	s_add_u32 s14, s14, 8
	s_addc_u32 s15, s15, 0
	v_or_b32_e32 v18, v2, v18
	s_cmp_lg_u32 s18, s16
	v_or_b32_e32 v19, v3, v19
	s_cbranch_scc1 .LBB6_2922
	s_branch .LBB6_2925
.LBB6_2923:                             ;   in Loop: Header=BB6_2879 Depth=1
                                        ; implicit-def: $vgpr18_vgpr19
	s_mov_b32 s19, 0
	s_branch .LBB6_2926
.LBB6_2924:                             ;   in Loop: Header=BB6_2879 Depth=1
	v_mov_b32_e32 v18, 0
	v_mov_b32_e32 v19, 0
.LBB6_2925:                             ;   in Loop: Header=BB6_2879 Depth=1
	s_mov_b64 s[14:15], s[4:5]
	s_mov_b32 s19, 0
	s_cbranch_execnz .LBB6_2927
.LBB6_2926:                             ;   in Loop: Header=BB6_2879 Depth=1
	global_load_dwordx2 v[18:19], v26, s[4:5]
	s_add_i32 s19, s18, -8
.LBB6_2927:                             ;   in Loop: Header=BB6_2879 Depth=1
	s_cmp_gt_u32 s19, 7
	s_cbranch_scc1 .LBB6_2931
; %bb.2928:                             ;   in Loop: Header=BB6_2879 Depth=1
	s_cmp_eq_u32 s19, 0
	s_cbranch_scc1 .LBB6_2932
; %bb.2929:                             ;   in Loop: Header=BB6_2879 Depth=1
	v_mov_b32_e32 v20, 0
	s_mov_b64 s[4:5], 0
	v_mov_b32_e32 v21, 0
	s_mov_b64 s[16:17], s[14:15]
.LBB6_2930:                             ;   Parent Loop BB6_2879 Depth=1
                                        ; =>  This Inner Loop Header: Depth=2
	global_load_ubyte v2, v26, s[16:17]
	s_add_i32 s19, s19, -1
	s_waitcnt vmcnt(0)
	v_and_b32_e32 v25, 0xffff, v2
	v_lshlrev_b64 v[2:3], s4, v[25:26]
	s_add_u32 s4, s4, 8
	s_addc_u32 s5, s5, 0
	s_add_u32 s16, s16, 1
	s_addc_u32 s17, s17, 0
	v_or_b32_e32 v20, v2, v20
	s_cmp_lg_u32 s19, 0
	v_or_b32_e32 v21, v3, v21
	s_cbranch_scc1 .LBB6_2930
	s_branch .LBB6_2933
.LBB6_2931:                             ;   in Loop: Header=BB6_2879 Depth=1
	s_branch .LBB6_2934
.LBB6_2932:                             ;   in Loop: Header=BB6_2879 Depth=1
	v_mov_b32_e32 v20, 0
	v_mov_b32_e32 v21, 0
.LBB6_2933:                             ;   in Loop: Header=BB6_2879 Depth=1
	s_cbranch_execnz .LBB6_2935
.LBB6_2934:                             ;   in Loop: Header=BB6_2879 Depth=1
	global_load_dwordx2 v[20:21], v26, s[14:15]
.LBB6_2935:                             ;   in Loop: Header=BB6_2879 Depth=1
	v_readfirstlane_b32 s4, v30
	v_mov_b32_e32 v2, 0
	v_mov_b32_e32 v3, 0
	v_cmp_eq_u32_e64 s[4:5], s4, v30
	s_and_saveexec_b64 s[14:15], s[4:5]
	s_cbranch_execz .LBB6_2941
; %bb.2936:                             ;   in Loop: Header=BB6_2879 Depth=1
	global_load_dwordx2 v[24:25], v26, s[6:7] offset:24 glc
	s_waitcnt vmcnt(0)
	buffer_wbinvl1_vol
	global_load_dwordx2 v[2:3], v26, s[6:7] offset:40
	global_load_dwordx2 v[22:23], v26, s[6:7]
	s_waitcnt vmcnt(1)
	v_and_b32_e32 v2, v2, v24
	v_and_b32_e32 v3, v3, v25
	v_mul_lo_u32 v3, v3, 24
	v_mul_hi_u32 v27, v2, 24
	v_mul_lo_u32 v2, v2, 24
	v_add_u32_e32 v3, v27, v3
	s_waitcnt vmcnt(0)
	v_add_co_u32_e32 v2, vcc, v22, v2
	v_addc_co_u32_e32 v3, vcc, v23, v3, vcc
	global_load_dwordx2 v[22:23], v[2:3], off glc
	s_waitcnt vmcnt(0)
	global_atomic_cmpswap_x2 v[2:3], v26, v[22:25], s[6:7] offset:24 glc
	s_waitcnt vmcnt(0)
	buffer_wbinvl1_vol
	v_cmp_ne_u64_e32 vcc, v[2:3], v[24:25]
	s_and_saveexec_b64 s[16:17], vcc
	s_cbranch_execz .LBB6_2940
; %bb.2937:                             ;   in Loop: Header=BB6_2879 Depth=1
	s_mov_b64 s[18:19], 0
.LBB6_2938:                             ;   Parent Loop BB6_2879 Depth=1
                                        ; =>  This Inner Loop Header: Depth=2
	s_sleep 1
	global_load_dwordx2 v[22:23], v26, s[6:7] offset:40
	global_load_dwordx2 v[27:28], v26, s[6:7]
	v_mov_b32_e32 v25, v3
	v_mov_b32_e32 v24, v2
	s_waitcnt vmcnt(1)
	v_and_b32_e32 v2, v22, v24
	s_waitcnt vmcnt(0)
	v_mad_u64_u32 v[2:3], s[20:21], v2, 24, v[27:28]
	v_and_b32_e32 v22, v23, v25
	v_mad_u64_u32 v[22:23], s[20:21], v22, 24, v[3:4]
	v_mov_b32_e32 v3, v22
	global_load_dwordx2 v[22:23], v[2:3], off glc
	s_waitcnt vmcnt(0)
	global_atomic_cmpswap_x2 v[2:3], v26, v[22:25], s[6:7] offset:24 glc
	s_waitcnt vmcnt(0)
	buffer_wbinvl1_vol
	v_cmp_eq_u64_e32 vcc, v[2:3], v[24:25]
	s_or_b64 s[18:19], vcc, s[18:19]
	s_andn2_b64 exec, exec, s[18:19]
	s_cbranch_execnz .LBB6_2938
; %bb.2939:                             ;   in Loop: Header=BB6_2879 Depth=1
	s_or_b64 exec, exec, s[18:19]
.LBB6_2940:                             ;   in Loop: Header=BB6_2879 Depth=1
	s_or_b64 exec, exec, s[16:17]
.LBB6_2941:                             ;   in Loop: Header=BB6_2879 Depth=1
	s_or_b64 exec, exec, s[14:15]
	global_load_dwordx2 v[27:28], v26, s[6:7] offset:40
	global_load_dwordx4 v[22:25], v26, s[6:7]
	v_readfirstlane_b32 s15, v3
	v_readfirstlane_b32 s14, v2
	s_mov_b64 s[16:17], exec
	s_waitcnt vmcnt(1)
	v_readfirstlane_b32 s18, v27
	v_readfirstlane_b32 s19, v28
	s_and_b64 s[18:19], s[18:19], s[14:15]
	s_mul_i32 s20, s19, 24
	s_mul_hi_u32 s21, s18, 24
	s_mul_i32 s22, s18, 24
	s_add_i32 s20, s21, s20
	v_mov_b32_e32 v2, s20
	s_waitcnt vmcnt(0)
	v_add_co_u32_e32 v27, vcc, s22, v22
	v_addc_co_u32_e32 v28, vcc, v23, v2, vcc
	s_and_saveexec_b64 s[20:21], s[4:5]
	s_cbranch_execz .LBB6_2943
; %bb.2942:                             ;   in Loop: Header=BB6_2879 Depth=1
	v_mov_b32_e32 v2, s16
	v_mov_b32_e32 v3, s17
	global_store_dwordx4 v[27:28], v[2:5], off offset:8
.LBB6_2943:                             ;   in Loop: Header=BB6_2879 Depth=1
	s_or_b64 exec, exec, s[20:21]
	s_lshl_b64 s[16:17], s[18:19], 12
	v_cmp_gt_u64_e64 s[18:19], s[10:11], 56
	v_mov_b32_e32 v2, s17
	v_add_co_u32_e32 v24, vcc, s16, v24
	s_and_b64 s[16:17], s[18:19], exec
	s_cselect_b32 s16, 0, 2
	s_lshl_b32 s17, s12, 2
	v_addc_co_u32_e32 v31, vcc, v25, v2, vcc
	s_add_i32 s17, s17, 28
	v_and_b32_e32 v2, 0xffffff1f, v6
	s_and_b32 s17, s17, 0x1e0
	v_or_b32_e32 v2, s16, v2
	v_or_b32_e32 v6, s17, v2
	v_readfirstlane_b32 s16, v24
	v_readfirstlane_b32 s17, v31
	s_nop 4
	global_store_dwordx4 v29, v[6:9], s[16:17]
	global_store_dwordx4 v29, v[10:13], s[16:17] offset:16
	global_store_dwordx4 v29, v[14:17], s[16:17] offset:32
	;; [unrolled: 1-line block ×3, first 2 shown]
	s_and_saveexec_b64 s[16:17], s[4:5]
	s_cbranch_execz .LBB6_2951
; %bb.2944:                             ;   in Loop: Header=BB6_2879 Depth=1
	global_load_dwordx2 v[10:11], v26, s[6:7] offset:32 glc
	global_load_dwordx2 v[2:3], v26, s[6:7] offset:40
	v_mov_b32_e32 v8, s14
	v_mov_b32_e32 v9, s15
	s_waitcnt vmcnt(0)
	v_readfirstlane_b32 s18, v2
	v_readfirstlane_b32 s19, v3
	s_and_b64 s[18:19], s[18:19], s[14:15]
	s_mul_i32 s19, s19, 24
	s_mul_hi_u32 s20, s18, 24
	s_mul_i32 s18, s18, 24
	s_add_i32 s19, s20, s19
	v_mov_b32_e32 v3, s19
	v_add_co_u32_e32 v2, vcc, s18, v22
	v_addc_co_u32_e32 v3, vcc, v23, v3, vcc
	global_store_dwordx2 v[2:3], v[10:11], off
	s_waitcnt vmcnt(0)
	global_atomic_cmpswap_x2 v[8:9], v26, v[8:11], s[6:7] offset:32 glc
	s_waitcnt vmcnt(0)
	v_cmp_ne_u64_e32 vcc, v[8:9], v[10:11]
	s_and_saveexec_b64 s[18:19], vcc
	s_cbranch_execz .LBB6_2947
; %bb.2945:                             ;   in Loop: Header=BB6_2879 Depth=1
	s_mov_b64 s[20:21], 0
.LBB6_2946:                             ;   Parent Loop BB6_2879 Depth=1
                                        ; =>  This Inner Loop Header: Depth=2
	s_sleep 1
	global_store_dwordx2 v[2:3], v[8:9], off
	v_mov_b32_e32 v6, s14
	v_mov_b32_e32 v7, s15
	s_waitcnt vmcnt(0)
	global_atomic_cmpswap_x2 v[6:7], v26, v[6:9], s[6:7] offset:32 glc
	s_waitcnt vmcnt(0)
	v_cmp_eq_u64_e32 vcc, v[6:7], v[8:9]
	v_mov_b32_e32 v9, v7
	s_or_b64 s[20:21], vcc, s[20:21]
	v_mov_b32_e32 v8, v6
	s_andn2_b64 exec, exec, s[20:21]
	s_cbranch_execnz .LBB6_2946
.LBB6_2947:                             ;   in Loop: Header=BB6_2879 Depth=1
	s_or_b64 exec, exec, s[18:19]
	global_load_dwordx2 v[2:3], v26, s[6:7] offset:16
	s_mov_b64 s[20:21], exec
	v_mbcnt_lo_u32_b32 v6, s20, 0
	v_mbcnt_hi_u32_b32 v6, s21, v6
	v_cmp_eq_u32_e32 vcc, 0, v6
	s_and_saveexec_b64 s[18:19], vcc
	s_cbranch_execz .LBB6_2949
; %bb.2948:                             ;   in Loop: Header=BB6_2879 Depth=1
	s_bcnt1_i32_b64 s20, s[20:21]
	v_mov_b32_e32 v25, s20
	s_waitcnt vmcnt(0)
	global_atomic_add_x2 v[2:3], v[25:26], off offset:8
.LBB6_2949:                             ;   in Loop: Header=BB6_2879 Depth=1
	s_or_b64 exec, exec, s[18:19]
	s_waitcnt vmcnt(0)
	global_load_dwordx2 v[6:7], v[2:3], off offset:16
	s_waitcnt vmcnt(0)
	v_cmp_eq_u64_e32 vcc, 0, v[6:7]
	s_cbranch_vccnz .LBB6_2951
; %bb.2950:                             ;   in Loop: Header=BB6_2879 Depth=1
	global_load_dword v25, v[2:3], off offset:24
	s_waitcnt vmcnt(0)
	v_readfirstlane_b32 s18, v25
	s_and_b32 m0, s18, 0xffffff
	global_store_dwordx2 v[6:7], v[25:26], off
	s_sendmsg sendmsg(MSG_INTERRUPT)
.LBB6_2951:                             ;   in Loop: Header=BB6_2879 Depth=1
	s_or_b64 exec, exec, s[16:17]
	v_add_co_u32_e32 v2, vcc, v24, v29
	v_addc_co_u32_e32 v3, vcc, 0, v31, vcc
	s_branch .LBB6_2955
.LBB6_2952:                             ;   in Loop: Header=BB6_2955 Depth=2
	s_or_b64 exec, exec, s[16:17]
	v_readfirstlane_b32 s16, v6
	s_cmp_eq_u32 s16, 0
	s_cbranch_scc1 .LBB6_2954
; %bb.2953:                             ;   in Loop: Header=BB6_2955 Depth=2
	s_sleep 1
	s_cbranch_execnz .LBB6_2955
	s_branch .LBB6_2957
.LBB6_2954:                             ;   in Loop: Header=BB6_2879 Depth=1
	s_branch .LBB6_2957
.LBB6_2955:                             ;   Parent Loop BB6_2879 Depth=1
                                        ; =>  This Inner Loop Header: Depth=2
	v_mov_b32_e32 v6, 1
	s_and_saveexec_b64 s[16:17], s[4:5]
	s_cbranch_execz .LBB6_2952
; %bb.2956:                             ;   in Loop: Header=BB6_2955 Depth=2
	global_load_dword v6, v[27:28], off offset:20 glc
	s_waitcnt vmcnt(0)
	buffer_wbinvl1_vol
	v_and_b32_e32 v6, 1, v6
	s_branch .LBB6_2952
.LBB6_2957:                             ;   in Loop: Header=BB6_2879 Depth=1
	global_load_dwordx4 v[6:9], v[2:3], off
	s_and_saveexec_b64 s[16:17], s[4:5]
	s_cbranch_execz .LBB6_2878
; %bb.2958:                             ;   in Loop: Header=BB6_2879 Depth=1
	global_load_dwordx2 v[2:3], v26, s[6:7] offset:40
	global_load_dwordx2 v[12:13], v26, s[6:7] offset:24 glc
	global_load_dwordx2 v[8:9], v26, s[6:7]
	s_waitcnt vmcnt(2)
	v_readfirstlane_b32 s18, v2
	v_readfirstlane_b32 s19, v3
	s_add_u32 s20, s18, 1
	s_addc_u32 s21, s19, 0
	s_add_u32 s4, s20, s14
	s_addc_u32 s5, s21, s15
	s_cmp_eq_u64 s[4:5], 0
	s_cselect_b32 s5, s21, s5
	s_cselect_b32 s4, s20, s4
	s_and_b64 s[14:15], s[4:5], s[18:19]
	s_mul_i32 s15, s15, 24
	s_mul_hi_u32 s18, s14, 24
	s_mul_i32 s14, s14, 24
	s_add_i32 s15, s18, s15
	v_mov_b32_e32 v3, s15
	s_waitcnt vmcnt(0)
	v_add_co_u32_e32 v2, vcc, s14, v8
	v_addc_co_u32_e32 v3, vcc, v9, v3, vcc
	v_mov_b32_e32 v10, s4
	global_store_dwordx2 v[2:3], v[12:13], off
	v_mov_b32_e32 v11, s5
	s_waitcnt vmcnt(0)
	global_atomic_cmpswap_x2 v[10:11], v26, v[10:13], s[6:7] offset:24 glc
	s_waitcnt vmcnt(0)
	v_cmp_ne_u64_e32 vcc, v[10:11], v[12:13]
	s_and_b64 exec, exec, vcc
	s_cbranch_execz .LBB6_2878
; %bb.2959:                             ;   in Loop: Header=BB6_2879 Depth=1
	s_mov_b64 s[14:15], 0
.LBB6_2960:                             ;   Parent Loop BB6_2879 Depth=1
                                        ; =>  This Inner Loop Header: Depth=2
	s_sleep 1
	global_store_dwordx2 v[2:3], v[10:11], off
	v_mov_b32_e32 v8, s4
	v_mov_b32_e32 v9, s5
	s_waitcnt vmcnt(0)
	global_atomic_cmpswap_x2 v[8:9], v26, v[8:11], s[6:7] offset:24 glc
	s_waitcnt vmcnt(0)
	v_cmp_eq_u64_e32 vcc, v[8:9], v[10:11]
	v_mov_b32_e32 v11, v9
	s_or_b64 s[14:15], vcc, s[14:15]
	v_mov_b32_e32 v10, v8
	s_andn2_b64 exec, exec, s[14:15]
	s_cbranch_execnz .LBB6_2960
	s_branch .LBB6_2878
.LBB6_2961:
	s_branch .LBB6_2989
.LBB6_2962:
	s_cbranch_execz .LBB6_2989
; %bb.2963:
	v_readfirstlane_b32 s4, v30
	s_waitcnt vmcnt(0)
	v_mov_b32_e32 v8, 0
	v_mov_b32_e32 v9, 0
	v_cmp_eq_u32_e64 s[4:5], s4, v30
	s_and_saveexec_b64 s[8:9], s[4:5]
	s_cbranch_execz .LBB6_2969
; %bb.2964:
	v_mov_b32_e32 v2, 0
	global_load_dwordx2 v[5:6], v2, s[6:7] offset:24 glc
	s_waitcnt vmcnt(0)
	buffer_wbinvl1_vol
	global_load_dwordx2 v[3:4], v2, s[6:7] offset:40
	global_load_dwordx2 v[7:8], v2, s[6:7]
	s_waitcnt vmcnt(1)
	v_and_b32_e32 v3, v3, v5
	v_and_b32_e32 v4, v4, v6
	v_mul_lo_u32 v4, v4, 24
	v_mul_hi_u32 v9, v3, 24
	v_mul_lo_u32 v3, v3, 24
	v_add_u32_e32 v4, v9, v4
	s_waitcnt vmcnt(0)
	v_add_co_u32_e32 v3, vcc, v7, v3
	v_addc_co_u32_e32 v4, vcc, v8, v4, vcc
	global_load_dwordx2 v[3:4], v[3:4], off glc
	s_waitcnt vmcnt(0)
	global_atomic_cmpswap_x2 v[8:9], v2, v[3:6], s[6:7] offset:24 glc
	s_waitcnt vmcnt(0)
	buffer_wbinvl1_vol
	v_cmp_ne_u64_e32 vcc, v[8:9], v[5:6]
	s_and_saveexec_b64 s[10:11], vcc
	s_cbranch_execz .LBB6_2968
; %bb.2965:
	s_mov_b64 s[12:13], 0
.LBB6_2966:                             ; =>This Inner Loop Header: Depth=1
	s_sleep 1
	global_load_dwordx2 v[3:4], v2, s[6:7] offset:40
	global_load_dwordx2 v[10:11], v2, s[6:7]
	v_mov_b32_e32 v5, v8
	v_mov_b32_e32 v6, v9
	s_waitcnt vmcnt(1)
	v_and_b32_e32 v3, v3, v5
	s_waitcnt vmcnt(0)
	v_mad_u64_u32 v[7:8], s[14:15], v3, 24, v[10:11]
	v_and_b32_e32 v4, v4, v6
	v_mov_b32_e32 v3, v8
	v_mad_u64_u32 v[3:4], s[14:15], v4, 24, v[3:4]
	v_mov_b32_e32 v8, v3
	global_load_dwordx2 v[3:4], v[7:8], off glc
	s_waitcnt vmcnt(0)
	global_atomic_cmpswap_x2 v[8:9], v2, v[3:6], s[6:7] offset:24 glc
	s_waitcnt vmcnt(0)
	buffer_wbinvl1_vol
	v_cmp_eq_u64_e32 vcc, v[8:9], v[5:6]
	s_or_b64 s[12:13], vcc, s[12:13]
	s_andn2_b64 exec, exec, s[12:13]
	s_cbranch_execnz .LBB6_2966
; %bb.2967:
	s_or_b64 exec, exec, s[12:13]
.LBB6_2968:
	s_or_b64 exec, exec, s[10:11]
.LBB6_2969:
	s_or_b64 exec, exec, s[8:9]
	v_mov_b32_e32 v2, 0
	global_load_dwordx2 v[10:11], v2, s[6:7] offset:40
	global_load_dwordx4 v[4:7], v2, s[6:7]
	v_readfirstlane_b32 s9, v9
	v_readfirstlane_b32 s8, v8
	s_mov_b64 s[10:11], exec
	s_waitcnt vmcnt(1)
	v_readfirstlane_b32 s12, v10
	v_readfirstlane_b32 s13, v11
	s_and_b64 s[12:13], s[12:13], s[8:9]
	s_mul_i32 s14, s13, 24
	s_mul_hi_u32 s15, s12, 24
	s_mul_i32 s16, s12, 24
	s_add_i32 s14, s15, s14
	v_mov_b32_e32 v3, s14
	s_waitcnt vmcnt(0)
	v_add_co_u32_e32 v8, vcc, s16, v4
	v_addc_co_u32_e32 v9, vcc, v5, v3, vcc
	s_and_saveexec_b64 s[14:15], s[4:5]
	s_cbranch_execz .LBB6_2971
; %bb.2970:
	v_mov_b32_e32 v10, s10
	v_mov_b32_e32 v11, s11
	;; [unrolled: 1-line block ×4, first 2 shown]
	global_store_dwordx4 v[8:9], v[10:13], off offset:8
.LBB6_2971:
	s_or_b64 exec, exec, s[14:15]
	s_lshl_b64 s[10:11], s[12:13], 12
	v_mov_b32_e32 v3, s11
	v_add_co_u32_e32 v6, vcc, s10, v6
	v_addc_co_u32_e32 v7, vcc, v7, v3, vcc
	s_movk_i32 s10, 0xff1d
	v_and_or_b32 v0, v0, s10, 34
	s_mov_b32 s12, 0
	v_mov_b32_e32 v3, v2
	v_readfirstlane_b32 s10, v6
	v_readfirstlane_b32 s11, v7
	s_mov_b32 s13, s12
	s_mov_b32 s14, s12
	;; [unrolled: 1-line block ×3, first 2 shown]
	s_nop 1
	global_store_dwordx4 v29, v[0:3], s[10:11]
	s_nop 0
	v_mov_b32_e32 v0, s12
	v_mov_b32_e32 v1, s13
	;; [unrolled: 1-line block ×4, first 2 shown]
	global_store_dwordx4 v29, v[0:3], s[10:11] offset:16
	global_store_dwordx4 v29, v[0:3], s[10:11] offset:32
	;; [unrolled: 1-line block ×3, first 2 shown]
	s_and_saveexec_b64 s[10:11], s[4:5]
	s_cbranch_execz .LBB6_2979
; %bb.2972:
	v_mov_b32_e32 v6, 0
	global_load_dwordx2 v[12:13], v6, s[6:7] offset:32 glc
	global_load_dwordx2 v[0:1], v6, s[6:7] offset:40
	v_mov_b32_e32 v10, s8
	v_mov_b32_e32 v11, s9
	s_waitcnt vmcnt(0)
	v_readfirstlane_b32 s12, v0
	v_readfirstlane_b32 s13, v1
	s_and_b64 s[12:13], s[12:13], s[8:9]
	s_mul_i32 s13, s13, 24
	s_mul_hi_u32 s14, s12, 24
	s_mul_i32 s12, s12, 24
	s_add_i32 s13, s14, s13
	v_mov_b32_e32 v0, s13
	v_add_co_u32_e32 v4, vcc, s12, v4
	v_addc_co_u32_e32 v5, vcc, v5, v0, vcc
	global_store_dwordx2 v[4:5], v[12:13], off
	s_waitcnt vmcnt(0)
	global_atomic_cmpswap_x2 v[2:3], v6, v[10:13], s[6:7] offset:32 glc
	s_waitcnt vmcnt(0)
	v_cmp_ne_u64_e32 vcc, v[2:3], v[12:13]
	s_and_saveexec_b64 s[12:13], vcc
	s_cbranch_execz .LBB6_2975
; %bb.2973:
	s_mov_b64 s[14:15], 0
.LBB6_2974:                             ; =>This Inner Loop Header: Depth=1
	s_sleep 1
	global_store_dwordx2 v[4:5], v[2:3], off
	v_mov_b32_e32 v0, s8
	v_mov_b32_e32 v1, s9
	s_waitcnt vmcnt(0)
	global_atomic_cmpswap_x2 v[0:1], v6, v[0:3], s[6:7] offset:32 glc
	s_waitcnt vmcnt(0)
	v_cmp_eq_u64_e32 vcc, v[0:1], v[2:3]
	v_mov_b32_e32 v3, v1
	s_or_b64 s[14:15], vcc, s[14:15]
	v_mov_b32_e32 v2, v0
	s_andn2_b64 exec, exec, s[14:15]
	s_cbranch_execnz .LBB6_2974
.LBB6_2975:
	s_or_b64 exec, exec, s[12:13]
	v_mov_b32_e32 v3, 0
	global_load_dwordx2 v[0:1], v3, s[6:7] offset:16
	s_mov_b64 s[12:13], exec
	v_mbcnt_lo_u32_b32 v2, s12, 0
	v_mbcnt_hi_u32_b32 v2, s13, v2
	v_cmp_eq_u32_e32 vcc, 0, v2
	s_and_saveexec_b64 s[14:15], vcc
	s_cbranch_execz .LBB6_2977
; %bb.2976:
	s_bcnt1_i32_b64 s12, s[12:13]
	v_mov_b32_e32 v2, s12
	s_waitcnt vmcnt(0)
	global_atomic_add_x2 v[0:1], v[2:3], off offset:8
.LBB6_2977:
	s_or_b64 exec, exec, s[14:15]
	s_waitcnt vmcnt(0)
	global_load_dwordx2 v[2:3], v[0:1], off offset:16
	s_waitcnt vmcnt(0)
	v_cmp_eq_u64_e32 vcc, 0, v[2:3]
	s_cbranch_vccnz .LBB6_2979
; %bb.2978:
	global_load_dword v0, v[0:1], off offset:24
	v_mov_b32_e32 v1, 0
	s_waitcnt vmcnt(0)
	v_readfirstlane_b32 s12, v0
	s_and_b32 m0, s12, 0xffffff
	global_store_dwordx2 v[2:3], v[0:1], off
	s_sendmsg sendmsg(MSG_INTERRUPT)
.LBB6_2979:
	s_or_b64 exec, exec, s[10:11]
	s_branch .LBB6_2983
.LBB6_2980:                             ;   in Loop: Header=BB6_2983 Depth=1
	s_or_b64 exec, exec, s[10:11]
	v_readfirstlane_b32 s10, v0
	s_cmp_eq_u32 s10, 0
	s_cbranch_scc1 .LBB6_2982
; %bb.2981:                             ;   in Loop: Header=BB6_2983 Depth=1
	s_sleep 1
	s_cbranch_execnz .LBB6_2983
	s_branch .LBB6_2985
.LBB6_2982:
	s_branch .LBB6_2985
.LBB6_2983:                             ; =>This Inner Loop Header: Depth=1
	v_mov_b32_e32 v0, 1
	s_and_saveexec_b64 s[10:11], s[4:5]
	s_cbranch_execz .LBB6_2980
; %bb.2984:                             ;   in Loop: Header=BB6_2983 Depth=1
	global_load_dword v0, v[8:9], off offset:20 glc
	s_waitcnt vmcnt(0)
	buffer_wbinvl1_vol
	v_and_b32_e32 v0, 1, v0
	s_branch .LBB6_2980
.LBB6_2985:
	s_and_saveexec_b64 s[10:11], s[4:5]
	s_cbranch_execz .LBB6_2988
; %bb.2986:
	v_mov_b32_e32 v6, 0
	global_load_dwordx2 v[0:1], v6, s[6:7] offset:40
	global_load_dwordx2 v[9:10], v6, s[6:7] offset:24 glc
	global_load_dwordx2 v[2:3], v6, s[6:7]
	s_waitcnt vmcnt(2)
	v_readfirstlane_b32 s12, v0
	v_readfirstlane_b32 s13, v1
	s_add_u32 s14, s12, 1
	s_addc_u32 s15, s13, 0
	s_add_u32 s4, s14, s8
	s_addc_u32 s5, s15, s9
	s_cmp_eq_u64 s[4:5], 0
	s_cselect_b32 s5, s15, s5
	s_cselect_b32 s4, s14, s4
	s_and_b64 s[8:9], s[4:5], s[12:13]
	s_mul_i32 s9, s9, 24
	s_mul_hi_u32 s12, s8, 24
	s_mul_i32 s8, s8, 24
	s_add_i32 s9, s12, s9
	v_mov_b32_e32 v0, s9
	s_waitcnt vmcnt(0)
	v_add_co_u32_e32 v4, vcc, s8, v2
	v_addc_co_u32_e32 v5, vcc, v3, v0, vcc
	v_mov_b32_e32 v7, s4
	global_store_dwordx2 v[4:5], v[9:10], off
	v_mov_b32_e32 v8, s5
	s_waitcnt vmcnt(0)
	global_atomic_cmpswap_x2 v[2:3], v6, v[7:10], s[6:7] offset:24 glc
	s_mov_b64 s[8:9], 0
	s_waitcnt vmcnt(0)
	v_cmp_ne_u64_e32 vcc, v[2:3], v[9:10]
	s_and_b64 exec, exec, vcc
	s_cbranch_execz .LBB6_2988
.LBB6_2987:                             ; =>This Inner Loop Header: Depth=1
	s_sleep 1
	global_store_dwordx2 v[4:5], v[2:3], off
	v_mov_b32_e32 v0, s4
	v_mov_b32_e32 v1, s5
	s_waitcnt vmcnt(0)
	global_atomic_cmpswap_x2 v[0:1], v6, v[0:3], s[6:7] offset:24 glc
	s_waitcnt vmcnt(0)
	v_cmp_eq_u64_e32 vcc, v[0:1], v[2:3]
	v_mov_b32_e32 v3, v1
	s_or_b64 s[8:9], vcc, s[8:9]
	v_mov_b32_e32 v2, v0
	s_andn2_b64 exec, exec, s[8:9]
	s_cbranch_execnz .LBB6_2987
.LBB6_2988:
	s_or_b64 exec, exec, s[10:11]
.LBB6_2989:
	s_getpc_b64 s[4:5]
	s_add_u32 s4, s4, .str.29@rel32@lo+4
	s_addc_u32 s5, s5, .str.29@rel32@hi+12
	s_getpc_b64 s[6:7]
	s_add_u32 s6, s6, .str.19@rel32@lo+4
	s_addc_u32 s7, s7, .str.19@rel32@hi+12
	s_getpc_b64 s[10:11]
	s_add_u32 s10, s10, __PRETTY_FUNCTION__._ZN7VecsMemIjLi8192EE5fetchEi@rel32@lo+4
	s_addc_u32 s11, s11, __PRETTY_FUNCTION__._ZN7VecsMemIjLi8192EE5fetchEi@rel32@hi+12
	s_getpc_b64 s[12:13]
	s_add_u32 s12, s12, __assert_fail@rel32@lo+4
	s_addc_u32 s13, s13, __assert_fail@rel32@hi+12
	s_mov_b64 s[8:9], s[64:65]
	s_waitcnt vmcnt(0)
	v_mov_b32_e32 v0, s4
	v_mov_b32_e32 v1, s5
	;; [unrolled: 1-line block ×7, first 2 shown]
	s_swappc_b64 s[30:31], s[12:13]
	s_or_b64 s[70:71], s[70:71], exec
.LBB6_2990:
	s_or_b64 exec, exec, s[26:27]
	s_andn2_b64 s[4:5], s[66:67], exec
	s_and_b64 s[6:7], s[70:71], exec
	s_or_b64 s[66:67], s[4:5], s[6:7]
	s_or_b64 exec, exec, s[68:69]
	s_and_saveexec_b64 s[4:5], s[66:67]
	s_cbranch_execnz .LBB6_3
	s_branch .LBB6_4
.Lfunc_end6:
	.size	_ZN3sop12sopFactorRecEPNS_3SopEiP7VecsMemIjLi8192EEPN8subgUtil4SubgILi256EEE, .Lfunc_end6-_ZN3sop12sopFactorRecEPNS_3SopEiP7VecsMemIjLi8192EEPN8subgUtil4SubgILi256EEE
                                        ; -- End function
	.set .L_ZN3sop12sopFactorRecEPNS_3SopEiP7VecsMemIjLi8192EEPN8subgUtil4SubgILi256EEE.num_vgpr, max(64, .L__assert_fail.num_vgpr, .L_ZN3sop23sopFactorTrivialCubeRecEjiiPN8subgUtil4SubgILi256EEE.num_vgpr, .L_ZN3sop19sopFactorTrivialRecEPjiiPN8subgUtil4SubgILi256EEE.num_vgpr)
	.set .L_ZN3sop12sopFactorRecEPNS_3SopEiP7VecsMemIjLi8192EEPN8subgUtil4SubgILi256EEE.num_agpr, max(0, .L__assert_fail.num_agpr, .L_ZN3sop23sopFactorTrivialCubeRecEjiiPN8subgUtil4SubgILi256EEE.num_agpr, .L_ZN3sop19sopFactorTrivialRecEPjiiPN8subgUtil4SubgILi256EEE.num_agpr)
	.set .L_ZN3sop12sopFactorRecEPNS_3SopEiP7VecsMemIjLi8192EEPN8subgUtil4SubgILi256EEE.numbered_sgpr, max(98, .L__assert_fail.numbered_sgpr, .L_ZN3sop23sopFactorTrivialCubeRecEjiiPN8subgUtil4SubgILi256EEE.numbered_sgpr, .L_ZN3sop19sopFactorTrivialRecEPjiiPN8subgUtil4SubgILi256EEE.numbered_sgpr)
	.set .L_ZN3sop12sopFactorRecEPNS_3SopEiP7VecsMemIjLi8192EEPN8subgUtil4SubgILi256EEE.num_named_barrier, max(0, .L__assert_fail.num_named_barrier, .L_ZN3sop23sopFactorTrivialCubeRecEjiiPN8subgUtil4SubgILi256EEE.num_named_barrier, .L_ZN3sop19sopFactorTrivialRecEPjiiPN8subgUtil4SubgILi256EEE.num_named_barrier)
	.set .L_ZN3sop12sopFactorRecEPNS_3SopEiP7VecsMemIjLi8192EEPN8subgUtil4SubgILi256EEE.private_seg_size, 208+max(.L__assert_fail.private_seg_size, .L_ZN3sop23sopFactorTrivialCubeRecEjiiPN8subgUtil4SubgILi256EEE.private_seg_size, .L_ZN3sop19sopFactorTrivialRecEPjiiPN8subgUtil4SubgILi256EEE.private_seg_size)
	.set .L_ZN3sop12sopFactorRecEPNS_3SopEiP7VecsMemIjLi8192EEPN8subgUtil4SubgILi256EEE.uses_vcc, or(1, .L__assert_fail.uses_vcc, .L_ZN3sop23sopFactorTrivialCubeRecEjiiPN8subgUtil4SubgILi256EEE.uses_vcc, .L_ZN3sop19sopFactorTrivialRecEPjiiPN8subgUtil4SubgILi256EEE.uses_vcc)
	.set .L_ZN3sop12sopFactorRecEPNS_3SopEiP7VecsMemIjLi8192EEPN8subgUtil4SubgILi256EEE.uses_flat_scratch, or(0, .L__assert_fail.uses_flat_scratch, .L_ZN3sop23sopFactorTrivialCubeRecEjiiPN8subgUtil4SubgILi256EEE.uses_flat_scratch, .L_ZN3sop19sopFactorTrivialRecEPjiiPN8subgUtil4SubgILi256EEE.uses_flat_scratch)
	.set .L_ZN3sop12sopFactorRecEPNS_3SopEiP7VecsMemIjLi8192EEPN8subgUtil4SubgILi256EEE.has_dyn_sized_stack, or(0, .L__assert_fail.has_dyn_sized_stack, .L_ZN3sop23sopFactorTrivialCubeRecEjiiPN8subgUtil4SubgILi256EEE.has_dyn_sized_stack, .L_ZN3sop19sopFactorTrivialRecEPjiiPN8subgUtil4SubgILi256EEE.has_dyn_sized_stack)
	.set .L_ZN3sop12sopFactorRecEPNS_3SopEiP7VecsMemIjLi8192EEPN8subgUtil4SubgILi256EEE.has_recursion, or(1, .L__assert_fail.has_recursion, .L_ZN3sop23sopFactorTrivialCubeRecEjiiPN8subgUtil4SubgILi256EEE.has_recursion, .L_ZN3sop19sopFactorTrivialRecEPjiiPN8subgUtil4SubgILi256EEE.has_recursion)
	.set .L_ZN3sop12sopFactorRecEPNS_3SopEiP7VecsMemIjLi8192EEPN8subgUtil4SubgILi256EEE.has_indirect_call, or(0, .L__assert_fail.has_indirect_call, .L_ZN3sop23sopFactorTrivialCubeRecEjiiPN8subgUtil4SubgILi256EEE.has_indirect_call, .L_ZN3sop19sopFactorTrivialRecEPjiiPN8subgUtil4SubgILi256EEE.has_indirect_call)
	.section	.AMDGPU.csdata,"",@progbits
; Function info:
; codeLenInByte = 105644
; TotalNumSgprs: 102
; NumVgprs: 64
; ScratchSize: 352
; MemoryBound: 0
	.text
	.protected	_Z8resynCutPKiS0_S0_S0_PKyPKjiS0_PyPiS6_S6_PjS0_S4_ii ; -- Begin function _Z8resynCutPKiS0_S0_S0_PKyPKjiS0_PyPiS6_S6_PjS0_S4_ii
	.globl	_Z8resynCutPKiS0_S0_S0_PKyPKjiS0_PyPiS6_S6_PjS0_S4_ii
	.p2align	8
	.type	_Z8resynCutPKiS0_S0_S0_PKyPKjiS0_PyPiS6_S6_PjS0_S4_ii,@function
_Z8resynCutPKiS0_S0_S0_PKyPKjiS0_PyPiS6_S6_PjS0_S4_ii: ; @_Z8resynCutPKiS0_S0_S0_PKyPKjiS0_PyPiS6_S6_PjS0_S4_ii
; %bb.0:
	s_add_u32 flat_scratch_lo, s6, s9
	s_addc_u32 flat_scratch_hi, s7, 0
	s_mov_b64 s[88:89], s[4:5]
	s_load_dword s4, s[4:5], 0x8c
	s_nop 0
	s_load_dword s12, s[88:89], 0x7c
	s_add_u32 s0, s0, s9
	s_addc_u32 s1, s1, 0
	s_add_u32 s6, s88, 0x80
	v_mov_b32_e32 v1, 0x1020
	s_addc_u32 s7, s89, 0
                                        ; implicit-def: $vgpr62 : SGPR spill to VGPR lane
	s_waitcnt lgkmcnt(0)
	s_and_b32 s9, s4, 0xffff
	v_add_u32_e32 v43, 4, v1
	v_writelane_b32 v62, s6, 0
	s_mul_i32 s8, s8, s9
	v_mov_b32_e32 v16, 0
	v_mov_b32_e32 v1, 0x9058
	v_writelane_b32 v62, s7, 1
	v_add_u32_e32 v0, s8, v0
	buffer_store_dword v16, v1, s[0:3], 0 offen
	v_mov_b32_e32 v1, 0x9058
	s_mov_b64 s[6:7], -1
	s_mov_b64 s[4:5], 0
	s_mov_b64 s[82:83], 0
	;; [unrolled: 1-line block ×28, first 2 shown]
	s_mov_b32 s32, 0x282c00
	buffer_store_dword v16, v43, s[0:3], 0 offen offset:44
	buffer_store_dword v16, v1, s[0:3], 0 offen offset:2056
	v_cmp_gt_i32_e32 vcc, s12, v0
	s_mov_b64 s[10:11], exec
	v_writelane_b32 v62, s10, 2
	v_writelane_b32 v62, s11, 3
	s_and_b64 s[10:11], s[10:11], vcc
	s_mov_b64 exec, s[10:11]
	s_cbranch_execz .LBB7_319
; %bb.1:
	s_mov_b32 s4, 0x281a00
	buffer_store_dword v0, off, s[0:3], s4  ; 4-byte Folded Spill
	s_nop 0
	buffer_store_dword v1, off, s[0:3], s4 offset:4 ; 4-byte Folded Spill
	s_mov_b64 s[4:5], src_private_base
	v_writelane_b32 v62, s4, 4
	v_writelane_b32 v62, s5, 5
	v_readlane_b32 s4, v62, 0
	v_readlane_b32 s5, v62, 1
	s_load_dword s6, s[88:89], 0x30
	s_load_dwordx8 s[16:23], s[88:89], 0x0
	s_nop 0
	s_load_dword s4, s[4:5], 0x0
	s_nop 0
	s_load_dwordx2 s[10:11], s[88:89], 0x68
	s_load_dwordx4 s[24:27], s[88:89], 0x20
	v_mov_b32_e32 v60, 0x9058
                                        ; implicit-def: $vgpr0
                                        ; kill: killed $vgpr0
                                        ; implicit-def: $vgpr0
	s_waitcnt lgkmcnt(0)
	s_ashr_i32 s7, s6, 31
	s_mul_i32 s4, s4, s9
	v_writelane_b32 v62, s24, 6
	v_writelane_b32 v62, s25, 7
	;; [unrolled: 1-line block ×7, first 2 shown]
	s_movk_i32 s4, 0x1054
	v_writelane_b32 v62, s4, 13
	s_lshl_b32 s4, s12, 1
	v_writelane_b32 v62, s12, 14
	s_add_i32 s4, s4, -1
	v_writelane_b32 v62, s4, 15
	s_mov_b64 s[4:5], 0
	v_writelane_b32 v62, s4, 16
	v_writelane_b32 v62, s5, 17
	v_mov_b32_e32 v46, s17
	v_mov_b32_e32 v59, s21
	v_writelane_b32 v62, s16, 18
	v_writelane_b32 v62, s17, 19
	;; [unrolled: 1-line block ×4, first 2 shown]
	s_load_dwordx4 s[4:7], s[88:89], 0x58
	v_writelane_b32 v62, s20, 22
	v_writelane_b32 v62, s21, 23
	;; [unrolled: 1-line block ×4, first 2 shown]
	s_waitcnt lgkmcnt(0)
	v_writelane_b32 v62, s4, 26
	v_writelane_b32 v62, s5, 27
	;; [unrolled: 1-line block ×4, first 2 shown]
                                        ; implicit-def: $sgpr4_sgpr5
                                        ; kill: killed $sgpr4_sgpr5
                                        ; implicit-def: $sgpr4_sgpr5
                                        ; kill: killed $sgpr4_sgpr5
	;; [unrolled: 2-line block ×26, first 2 shown]
                                        ; implicit-def: $sgpr4_sgpr5
	v_writelane_b32 v62, s10, 30
                                        ; kill: killed $sgpr4_sgpr5
                                        ; implicit-def: $sgpr4_sgpr5
	v_writelane_b32 v62, s11, 31
	v_mov_b32_e32 v57, s11
                                        ; kill: killed $sgpr4_sgpr5
	s_load_dwordx8 s[4:11], s[88:89], 0x38
	v_mov_b32_e32 v56, s23
                                        ; kill: killed $vgpr0
                                        ; implicit-def: $sgpr90_sgpr91
                                        ; implicit-def: $sgpr70_sgpr71
	s_waitcnt lgkmcnt(0)
	v_writelane_b32 v62, s4, 32
	v_writelane_b32 v62, s5, 33
	;; [unrolled: 1-line block ×10, first 2 shown]
	s_branch .LBB7_15
.LBB7_2:                                ;   in Loop: Header=BB7_15 Depth=1
	s_or_b64 exec, exec, s[84:85]
	s_andn2_b64 s[50:51], s[50:51], exec
	s_and_b64 s[80:81], s[80:81], exec
	s_andn2_b64 s[48:49], s[48:49], exec
	s_and_b64 s[70:71], s[70:71], exec
	;; [unrolled: 2-line block ×11, first 2 shown]
	s_or_b64 s[50:51], s[50:51], s[80:81]
	s_and_b64 s[80:81], s[82:83], exec
	s_and_b64 s[78:79], s[78:79], exec
	s_and_b64 s[76:77], s[76:77], exec
	s_and_b64 s[74:75], s[74:75], exec
	s_and_b64 s[72:73], s[72:73], exec
	s_or_b64 s[48:49], s[48:49], s[70:71]
	s_or_b64 s[6:7], s[6:7], s[68:69]
	;; [unrolled: 1-line block ×10, first 2 shown]
	s_orn2_b64 s[54:55], s[28:29], exec
.LBB7_3:                                ;   in Loop: Header=BB7_15 Depth=1
	s_or_b64 exec, exec, s[52:53]
	s_mov_b32 s4, 0x282900
	s_waitcnt vmcnt(0)
	buffer_store_dword v18, off, s[0:3], s4 ; 4-byte Folded Spill
	s_andn2_b64 s[4:5], s[24:25], exec
	s_and_b64 s[24:25], s[50:51], exec
	s_or_b64 s[24:25], s[4:5], s[24:25]
	s_and_b64 s[4:5], s[6:7], exec
	s_andn2_b64 s[6:7], s[22:23], exec
	s_and_b64 s[22:23], s[46:47], exec
	s_or_b64 s[22:23], s[6:7], s[22:23]
	s_andn2_b64 s[6:7], s[20:21], exec
	s_and_b64 s[20:21], s[44:45], exec
	s_or_b64 s[20:21], s[6:7], s[20:21]
	;; [unrolled: 3-line block ×7, first 2 shown]
	s_andn2_b64 s[6:7], s[10:11], exec
	s_and_b64 s[10:11], s[30:31], exec
	s_and_b64 s[60:61], s[80:81], exec
	;; [unrolled: 1-line block ×7, first 2 shown]
	s_or_b64 s[10:11], s[6:7], s[10:11]
	s_orn2_b64 s[6:7], s[54:55], exec
.LBB7_4:                                ;   in Loop: Header=BB7_15 Depth=1
	s_or_b64 exec, exec, s[26:27]
	v_readlane_b32 s26, v63, 20
	v_readlane_b32 s27, v63, 21
	s_andn2_b64 s[26:27], s[26:27], exec
	s_and_b64 s[24:25], s[24:25], exec
	s_or_b64 s[24:25], s[26:27], s[24:25]
	v_writelane_b32 v63, s24, 20
	v_writelane_b32 v63, s25, 21
	s_and_b64 s[24:25], s[4:5], exec
	s_and_b64 s[4:5], s[8:9], exec
	v_readlane_b32 s8, v63, 24
	v_readlane_b32 s9, v63, 25
	s_andn2_b64 s[8:9], s[8:9], exec
	s_and_b64 s[16:17], s[16:17], exec
	s_or_b64 s[8:9], s[8:9], s[16:17]
	v_writelane_b32 v63, s8, 24
	v_writelane_b32 v63, s9, 25
	v_readlane_b32 s8, v63, 22
	v_readlane_b32 s9, v63, 23
	s_andn2_b64 s[8:9], s[8:9], exec
	s_and_b64 s[14:15], s[14:15], exec
	s_or_b64 s[8:9], s[8:9], s[14:15]
	v_writelane_b32 v63, s8, 22
	v_writelane_b32 v63, s9, 23
	v_readlane_b32 s8, v63, 30
	v_readlane_b32 s9, v63, 31
	s_andn2_b64 s[8:9], s[8:9], exec
	s_and_b64 s[12:13], s[12:13], exec
	s_or_b64 s[14:15], s[8:9], s[12:13]
	v_readlane_b32 s8, v63, 28
	v_readlane_b32 s9, v63, 29
	s_andn2_b64 s[8:9], s[8:9], exec
	s_and_b64 s[10:11], s[10:11], exec
	s_and_b64 s[40:41], s[60:61], exec
	;; [unrolled: 1-line block ×10, first 2 shown]
	s_or_b64 s[16:17], s[8:9], s[10:11]
	s_orn2_b64 s[6:7], s[6:7], exec
.LBB7_5:                                ;   in Loop: Header=BB7_15 Depth=1
	v_readlane_b32 s8, v63, 26
	v_readlane_b32 s9, v63, 27
	s_or_b64 exec, exec, s[8:9]
	v_readlane_b32 s8, v63, 20
	v_readlane_b32 s9, v63, 21
	s_orn2_b64 s[44:45], s[8:9], exec
	s_mov_b64 s[8:9], s[14:15]
	s_and_b64 s[14:15], s[4:5], exec
	v_readlane_b32 s4, v63, 24
	v_readlane_b32 s5, v63, 25
	s_and_b64 s[12:13], s[4:5], exec
	v_readlane_b32 s4, v63, 22
	s_and_b64 s[28:29], s[30:31], exec
	s_mov_b64 s[30:31], s[16:17]
	v_readlane_b32 s5, v63, 23
	s_and_b64 s[48:49], s[40:41], exec
	s_and_b64 s[46:47], s[38:39], exec
	s_and_b64 s[42:43], s[36:37], exec
	s_and_b64 s[40:41], s[34:35], exec
	s_and_b64 s[26:27], s[26:27], exec
	s_and_b64 s[24:25], s[24:25], exec
	s_and_b64 s[22:23], s[22:23], exec
	s_and_b64 s[20:21], s[20:21], exec
	s_and_b64 s[16:17], s[18:19], exec
	s_and_b64 s[10:11], s[4:5], exec
	s_and_b64 s[8:9], s[8:9], exec
	s_and_b64 s[4:5], s[30:31], exec
	s_orn2_b64 s[6:7], s[6:7], exec
.LBB7_6:                                ;   in Loop: Header=BB7_15 Depth=1
	v_readlane_b32 s18, v63, 18
	v_readlane_b32 s19, v63, 19
	s_or_b64 exec, exec, s[18:19]
	s_and_b64 s[44:45], s[44:45], exec
	s_and_b64 s[38:39], s[48:49], exec
	s_and_b64 s[36:37], s[46:47], exec
	s_and_b64 s[34:35], s[42:43], exec
	s_and_b64 s[30:31], s[40:41], exec
	s_and_b64 s[28:29], s[28:29], exec
	s_and_b64 s[26:27], s[26:27], exec
	s_and_b64 s[24:25], s[24:25], exec
	s_and_b64 s[22:23], s[22:23], exec
	s_and_b64 s[20:21], s[20:21], exec
	s_and_b64 s[18:19], s[16:17], exec
	s_and_b64 s[16:17], s[14:15], exec
	s_and_b64 s[14:15], s[12:13], exec
	s_and_b64 s[12:13], s[10:11], exec
	s_and_b64 s[10:11], s[8:9], exec
	s_and_b64 s[4:5], s[4:5], exec
	s_xor_b64 s[8:9], exec, -1
	s_orn2_b64 s[6:7], s[6:7], exec
.LBB7_7:                                ;   in Loop: Header=BB7_15 Depth=1
	v_readlane_b32 s40, v63, 16
	v_readlane_b32 s41, v63, 17
	s_or_b64 exec, exec, s[40:41]
	s_and_b64 s[40:41], s[38:39], exec
	s_and_b64 s[38:39], s[36:37], exec
	;; [unrolled: 1-line block ×16, first 2 shown]
	v_readlane_b32 s8, v63, 8
	v_readlane_b32 s9, v63, 9
	s_andn2_b64 s[8:9], s[8:9], exec
	v_writelane_b32 v63, s8, 8
	v_writelane_b32 v63, s9, 9
	v_readlane_b32 s8, v63, 6
	v_readlane_b32 s9, v63, 7
	s_and_b64 s[42:43], s[44:45], exec
	v_readlane_b32 s44, v63, 14
	s_andn2_b64 s[8:9], s[8:9], exec
	v_readlane_b32 s45, v63, 15
	v_writelane_b32 v63, s8, 6
	v_writelane_b32 v63, s9, 7
	v_readlane_b32 s8, v63, 4
	v_readlane_b32 s9, v63, 5
	s_andn2_b64 s[8:9], s[8:9], exec
	v_writelane_b32 v63, s8, 4
	v_writelane_b32 v63, s9, 5
	v_readlane_b32 s8, v63, 2
	v_readlane_b32 s9, v63, 3
	s_andn2_b64 s[8:9], s[8:9], exec
	v_writelane_b32 v63, s8, 2
	v_writelane_b32 v63, s9, 3
	v_readlane_b32 s52, v63, 12
	v_readlane_b32 s53, v63, 13
	v_readlane_b32 s50, v61, 62
	s_andn2_b64 s[44:45], s[44:45], exec
	s_andn2_b64 s[52:53], s[52:53], exec
	s_orn2_b64 s[6:7], s[6:7], exec
	v_readlane_b32 s51, v61, 63
.LBB7_8:                                ;   in Loop: Header=BB7_15 Depth=1
	v_readlane_b32 s8, v63, 10
	v_readlane_b32 s9, v63, 11
	s_or_b64 exec, exec, s[8:9]
	s_mov_b64 s[46:47], s[44:45]
	s_and_b64 s[44:45], s[42:43], exec
	s_and_b64 s[42:43], s[40:41], exec
	;; [unrolled: 1-line block ×17, first 2 shown]
	v_readlane_b32 s4, v63, 8
	v_readlane_b32 s5, v63, 9
	s_and_b64 s[8:9], s[4:5], exec
	s_and_b64 s[4:5], s[46:47], exec
	v_readlane_b32 s46, v61, 60
	v_readlane_b32 s48, v63, 6
	v_readlane_b32 s47, v61, 61
	v_readlane_b32 s49, v63, 7
	s_andn2_b64 s[46:47], s[46:47], exec
	s_and_b64 s[48:49], s[48:49], exec
	s_or_b64 s[46:47], s[46:47], s[48:49]
	v_writelane_b32 v61, s46, 60
	v_writelane_b32 v61, s47, 61
	v_readlane_b32 s46, v61, 58
	v_readlane_b32 s48, v63, 4
	v_readlane_b32 s47, v61, 59
	v_readlane_b32 s49, v63, 5
	s_andn2_b64 s[46:47], s[46:47], exec
	s_and_b64 s[48:49], s[48:49], exec
	s_or_b64 s[46:47], s[46:47], s[48:49]
	v_writelane_b32 v61, s46, 58
	v_writelane_b32 v61, s47, 59
	;; [unrolled: 9-line block ×3, first 2 shown]
	s_andn2_b64 s[46:47], s[50:51], exec
	s_and_b64 s[48:49], s[52:53], exec
	s_or_b64 s[56:57], s[46:47], s[48:49]
	s_orn2_b64 s[6:7], s[6:7], exec
.LBB7_9:                                ;   in Loop: Header=BB7_15 Depth=1
	v_readlane_b32 s46, v63, 0
	v_readlane_b32 s47, v63, 1
	s_or_b64 exec, exec, s[46:47]
	s_and_b64 s[50:51], s[40:41], exec
	s_and_b64 s[40:41], s[30:31], exec
	s_and_b64 s[30:31], s[22:23], exec
	s_and_b64 s[22:23], s[14:15], exec
	s_and_b64 s[14:15], s[4:5], exec
	v_readlane_b32 s4, v61, 60
	v_readlane_b32 s5, v61, 61
	s_and_b64 s[48:49], s[38:39], exec
	s_and_b64 s[38:39], s[28:29], exec
	s_and_b64 s[28:29], s[20:21], exec
	s_and_b64 s[20:21], s[12:13], exec
	s_and_b64 s[12:13], s[4:5], exec
	v_readlane_b32 s4, v61, 58
	v_readlane_b32 s5, v61, 59
	;; [unrolled: 7-line block ×3, first 2 shown]
	s_and_b64 s[54:55], s[44:45], exec
	s_and_b64 s[52:53], s[42:43], exec
	s_and_b64 s[42:43], s[34:35], exec
	s_and_b64 s[34:35], s[24:25], exec
	s_and_b64 s[24:25], s[16:17], exec
	s_and_b64 s[16:17], s[8:9], exec
	s_and_b64 s[8:9], s[4:5], exec
	s_orn2_b64 s[44:45], s[56:57], exec
	s_orn2_b64 s[4:5], s[6:7], exec
.LBB7_10:                               ;   in Loop: Header=BB7_15 Depth=1
	v_readlane_b32 s6, v61, 54
	v_readlane_b32 s7, v61, 55
	s_or_b64 exec, exec, s[6:7]
	s_and_b64 s[6:7], s[44:45], exec
	v_readlane_b32 s44, v61, 44
	v_readlane_b32 s45, v61, 45
	s_andn2_b64 s[44:45], s[44:45], exec
	v_writelane_b32 v61, s44, 44
	v_writelane_b32 v61, s45, 45
	v_readlane_b32 s44, v61, 46
	v_readlane_b32 s45, v61, 47
	s_andn2_b64 s[44:45], s[44:45], exec
	v_writelane_b32 v61, s44, 46
	v_writelane_b32 v61, s45, 47
	;; [unrolled: 5-line block ×4, first 2 shown]
	v_readlane_b32 s56, v61, 52
	s_and_b64 s[54:55], s[54:55], exec
	s_and_b64 s[52:53], s[52:53], exec
	;; [unrolled: 1-line block ×22, first 2 shown]
	s_orn2_b64 s[4:5], s[4:5], exec
	v_readlane_b32 s57, v61, 53
.LBB7_11:                               ;   in Loop: Header=BB7_15 Depth=1
	s_or_b64 exec, exec, s[56:57]
	s_and_b64 s[60:61], s[54:55], exec
	s_and_b64 s[54:55], s[48:49], exec
	;; [unrolled: 1-line block ×7, first 2 shown]
	v_readlane_b32 s6, v61, 44
	v_readlane_b32 s7, v61, 45
	s_and_b64 s[58:59], s[52:53], exec
	s_and_b64 s[52:53], s[46:47], exec
	;; [unrolled: 1-line block ×7, first 2 shown]
	v_readlane_b32 s6, v61, 46
	v_readlane_b32 s7, v61, 47
	s_and_b64 s[44:45], s[36:37], exec
	s_and_b64 s[36:37], s[26:27], exec
	;; [unrolled: 1-line block ×5, first 2 shown]
	v_readlane_b32 s6, v61, 48
	v_readlane_b32 s7, v61, 49
	s_and_b64 s[56:57], s[50:51], exec
	s_and_b64 s[50:51], s[42:43], exec
	;; [unrolled: 1-line block ×7, first 2 shown]
	v_readlane_b32 s6, v61, 50
	v_readlane_b32 s7, v61, 51
	s_and_b64 s[6:7], s[6:7], exec
	s_orn2_b64 s[4:5], s[4:5], exec
.LBB7_12:                               ;   in Loop: Header=BB7_15 Depth=1
	v_readlane_b32 s62, v61, 42
	v_readlane_b32 s63, v61, 43
	s_or_b64 exec, exec, s[62:63]
	s_and_b64 s[62:63], s[60:61], exec
	s_and_b64 s[60:61], s[58:59], exec
	;; [unrolled: 1-line block ×27, first 2 shown]
	s_xor_b64 s[8:9], exec, -1
	s_orn2_b64 s[4:5], s[4:5], exec
.LBB7_13:                               ;   in Loop: Header=BB7_15 Depth=1
	v_readlane_b32 s64, v62, 46
	v_readlane_b32 s65, v62, 47
	s_or_b64 exec, exec, s[64:65]
	v_readlane_b32 s64, v62, 44
	v_readlane_b32 s65, v62, 45
	s_andn2_b64 s[64:65], s[64:65], exec
	s_and_b64 s[62:63], s[62:63], exec
	s_or_b64 s[68:69], s[64:65], s[62:63]
	s_and_b64 s[62:63], s[60:61], exec
	s_and_b64 s[60:61], s[58:59], exec
	s_and_b64 s[58:59], s[56:57], exec
	s_and_b64 s[56:57], s[54:55], exec
	s_and_b64 s[54:55], s[52:53], exec
	s_and_b64 s[52:53], s[50:51], exec
	s_and_b64 s[50:51], s[48:49], exec
	s_and_b64 s[48:49], s[46:47], exec
	s_and_b64 s[46:47], s[44:45], exec
	s_and_b64 s[44:45], s[42:43], exec
	s_and_b64 s[42:43], s[40:41], exec
	s_and_b64 s[40:41], s[38:39], exec
	s_and_b64 s[38:39], s[36:37], exec
	s_and_b64 s[36:37], s[34:35], exec
	s_and_b64 s[34:35], s[30:31], exec
	s_and_b64 s[30:31], s[28:29], exec
	s_and_b64 s[28:29], s[26:27], exec
	s_and_b64 s[26:27], s[24:25], exec
	s_and_b64 s[24:25], s[22:23], exec
	s_and_b64 s[22:23], s[20:21], exec
	s_and_b64 s[20:21], s[18:19], exec
	s_and_b64 s[18:19], s[16:17], exec
	s_and_b64 s[16:17], s[14:15], exec
	s_and_b64 s[14:15], s[12:13], exec
	s_and_b64 s[12:13], s[10:11], exec
	s_and_b64 s[10:11], s[6:7], exec
	s_and_b64 s[6:7], s[8:9], exec
	s_xor_b64 s[8:9], exec, -1
	s_orn2_b64 s[4:5], s[4:5], exec
.LBB7_14:                               ;   in Loop: Header=BB7_15 Depth=1
	v_readlane_b32 s64, v62, 42
	v_readlane_b32 s65, v62, 43
	s_or_b64 exec, exec, s[64:65]
	s_xor_b64 s[62:63], s[62:63], -1
	s_xor_b64 s[60:61], s[60:61], -1
	;; [unrolled: 1-line block ×28, first 2 shown]
	v_readlane_b32 s66, v62, 16
	s_and_b64 s[4:5], exec, s[4:5]
	v_readlane_b32 s67, v62, 17
	s_or_b64 s[66:67], s[4:5], s[66:67]
	v_readlane_b32 s4, v62, 48
	v_readlane_b32 s5, v62, 49
	s_andn2_b64 s[4:5], s[4:5], exec
	s_and_b64 s[64:65], s[68:69], exec
	s_or_b64 s[4:5], s[4:5], s[64:65]
	v_writelane_b32 v62, s4, 48
	v_writelane_b32 v62, s5, 49
	s_andn2_b64 s[4:5], s[90:91], exec
	s_and_b64 s[62:63], s[62:63], exec
	s_or_b64 s[90:91], s[4:5], s[62:63]
	v_readlane_b32 s4, v62, 50
	v_readlane_b32 s5, v62, 51
	s_andn2_b64 s[4:5], s[4:5], exec
	s_and_b64 s[60:61], s[60:61], exec
	s_or_b64 s[4:5], s[4:5], s[60:61]
	v_writelane_b32 v62, s4, 50
	v_writelane_b32 v62, s5, 51
	v_readlane_b32 s4, v62, 52
	v_readlane_b32 s5, v62, 53
	s_andn2_b64 s[4:5], s[4:5], exec
	s_and_b64 s[58:59], s[58:59], exec
	s_or_b64 s[4:5], s[4:5], s[58:59]
	v_writelane_b32 v62, s4, 52
	v_writelane_b32 v62, s5, 53
	;; [unrolled: 7-line block ×27, first 2 shown]
	s_mov_b64 s[70:71], s[68:69]
	v_writelane_b32 v61, s5, 39
	v_writelane_b32 v62, s67, 17
	s_andn2_b64 exec, exec, s[66:67]
	s_cbranch_execz .LBB7_258
.LBB7_15:                               ; =>This Loop Header: Depth=1
                                        ;     Child Loop BB7_21 Depth 2
                                        ;     Child Loop BB7_39 Depth 2
	;; [unrolled: 1-line block ×6, first 2 shown]
                                        ;       Child Loop BB7_99 Depth 3
                                        ;     Child Loop BB7_120 Depth 2
                                        ;     Child Loop BB7_124 Depth 2
	;; [unrolled: 1-line block ×7, first 2 shown]
                                        ;       Child Loop BB7_203 Depth 3
                                        ;     Child Loop BB7_240 Depth 2
	s_mov_b32 s4, 0x281a00
	buffer_load_dword v0, off, s[0:3], s4   ; 4-byte Folded Reload
	buffer_load_dword v1, off, s[0:3], s4 offset:4 ; 4-byte Folded Reload
	v_readlane_b32 s4, v62, 18
	v_readlane_b32 s8, v62, 22
	;; [unrolled: 1-line block ×8, first 2 shown]
	s_waitcnt vmcnt(1)
	v_mov_b32_e32 v4, v0
	v_ashrrev_i32_e32 v5, 31, v4
	v_lshlrev_b64 v[5:6], 2, v[4:5]
	v_add_co_u32_e32 v0, vcc, s4, v5
	s_waitcnt vmcnt(0)
	v_addc_co_u32_e32 v1, vcc, v46, v6, vcc
	global_load_dword v1, v[0:1], off
	s_mov_b32 s4, 0x281c00
	s_waitcnt vmcnt(0)
	v_mov_b32_e32 v0, v1
	v_ashrrev_i32_e32 v2, 31, v1
	buffer_store_dword v0, off, s[0:3], s4  ; 4-byte Folded Spill
	s_nop 0
	buffer_store_dword v1, off, s[0:3], s4 offset:4 ; 4-byte Folded Spill
	s_mov_b32 s4, 0x281a00
	v_lshlrev_b64 v[0:1], 2, v[1:2]
	v_add_co_u32_e32 v2, vcc, s8, v0
	v_addc_co_u32_e32 v3, vcc, v59, v1, vcc
	v_add_co_u32_e32 v0, vcc, s10, v0
	v_addc_co_u32_e32 v1, vcc, v56, v1, vcc
	global_load_dword v40, v[2:3], off
	global_load_dword v58, v[0:1], off
	v_mov_b32_e32 v0, 0
	v_mov_b32_e32 v1, v4
	v_cmp_ne_u32_e32 vcc, 0, v4
	buffer_store_dword v1, off, s[0:3], s4  ; 4-byte Folded Spill
	s_nop 0
	buffer_store_dword v2, off, s[0:3], s4 offset:4 ; 4-byte Folded Spill
	s_and_saveexec_b64 s[4:5], vcc
	s_cbranch_execz .LBB7_17
; %bb.16:                               ;   in Loop: Header=BB7_15 Depth=1
	v_readlane_b32 s6, v62, 30
	v_readlane_b32 s7, v62, 31
	v_mov_b32_e32 v1, s7
	v_add_co_u32_e32 v0, vcc, s6, v5
	v_addc_co_u32_e32 v1, vcc, v1, v6, vcc
	global_load_dword v0, v[0:1], off offset:-4
.LBB7_17:                               ;   in Loop: Header=BB7_15 Depth=1
	s_or_b64 exec, exec, s[4:5]
	v_readlane_b32 s4, v62, 30
	v_add_co_u32_e32 v1, vcc, s4, v5
	s_mov_b32 s4, 0x281e00
	s_nop 2
	buffer_store_dword v5, off, s[0:3], s4  ; 4-byte Folded Spill
	s_nop 0
	buffer_store_dword v6, off, s[0:3], s4 offset:4 ; 4-byte Folded Spill
	v_readlane_b32 s5, v62, 31
	s_mov_b64 s[4:5], -1
	s_mov_b64 s[6:7], 0
	s_andn2_b64 s[68:69], s[70:71], exec
	s_mov_b64 s[8:9], -1
	s_mov_b64 s[10:11], 0
	s_mov_b64 s[12:13], 0
	;; [unrolled: 1-line block ×26, first 2 shown]
	v_addc_co_u32_e32 v2, vcc, v57, v6, vcc
	global_load_dword v1, v[1:2], off
	s_waitcnt vmcnt(6)
	v_add_u32_e32 v2, -5, v40
	v_lshlrev_b32_e64 v2, v2, 1
	v_cmp_lt_i32_e32 vcc, 5, v40
	v_cndmask_b32_e32 v45, 1, v2, vcc
	s_waitcnt vmcnt(0)
	v_sub_u32_e32 v1, v1, v0
	v_cmp_eq_u32_e32 vcc, v1, v45
	s_mov_b64 s[64:65], exec
	v_writelane_b32 v62, s64, 42
	v_writelane_b32 v62, s65, 43
	s_and_b64 s[64:65], s[64:65], vcc
                                        ; implicit-def: $vgpr61 : SGPR spill to VGPR lane
	s_mov_b64 exec, s[64:65]
	s_cbranch_execz .LBB7_14
; %bb.18:                               ;   in Loop: Header=BB7_15 Depth=1
	buffer_load_dword v1, v43, s[0:3], 0 offen offset:44
	v_writelane_b32 v62, s68, 44
	v_writelane_b32 v62, s69, 45
	s_waitcnt vmcnt(0)
	v_cmp_lt_i32_e32 vcc, -1, v1
	s_mov_b64 s[64:65], exec
	v_writelane_b32 v62, s64, 46
	v_writelane_b32 v62, s65, 47
	s_and_b64 s[64:65], s[64:65], vcc
	s_mov_b64 exec, s[64:65]
	s_cbranch_execz .LBB7_13
; %bb.19:                               ;   in Loop: Header=BB7_15 Depth=1
	v_ashrrev_i32_e32 v1, 31, v0
	v_lshlrev_b64 v[1:2], 2, v[0:1]
	v_readlane_b32 s4, v62, 26
	v_readlane_b32 s6, v62, 28
	s_mov_b32 s4, 0x282100
	v_add_co_u32_e32 v41, vcc, s6, v1
	s_nop 1
	buffer_store_dword v1, off, s[0:3], s4  ; 4-byte Folded Spill
	s_nop 0
	buffer_store_dword v2, off, s[0:3], s4 offset:4 ; 4-byte Folded Spill
	v_readlane_b32 s7, v62, 29
	v_mov_b32_e32 v0, s7
	v_writelane_b32 v61, s90, 40
	s_add_u32 s8, s88, 0x80
	v_writelane_b32 v61, s91, 41
	v_readlane_b32 s5, v62, 27
	s_addc_u32 s9, s89, 0
	v_readlane_b32 s6, v62, 4
	buffer_store_dword v16, v43, s[0:3], 0 offen offset:44
	s_getpc_b64 s[4:5]
	s_add_u32 s4, s4, _ZN3sop13minatoIsopRecEPKjS1_iPNS_3SopEP7VecsMemIjLi8192EE@rel32@lo+4
	s_addc_u32 s5, s5, _ZN3sop13minatoIsopRecEPKjS1_iPNS_3SopEP7VecsMemIjLi8192EE@rel32@hi+12
	v_mov_b32_e32 v4, v40
	v_mov_b32_e32 v5, 0x1020
	v_addc_co_u32_e32 v42, vcc, v0, v2, vcc
	v_mov_b32_e32 v0, v41
	v_mov_b32_e32 v1, v42
	;; [unrolled: 1-line block ×4, first 2 shown]
	s_or_saveexec_b64 s[100:101], -1
	s_mov_b32 s6, 0x282000
	buffer_store_dword v62, off, s[0:3], s6 ; 4-byte Folded Spill
	s_mov_b64 exec, s[100:101]
	v_readlane_b32 s7, v62, 5
	v_mov_b32_e32 v6, s7
	v_mov_b32_e32 v7, 0x1050
	;; [unrolled: 1-line block ×4, first 2 shown]
	s_swappc_b64 s[30:31], s[4:5]
	v_mov_b32_e32 v16, v47
	s_mov_b64 s[4:5], 0
	v_mov_b32_e32 v15, v45
                                        ; implicit-def: $sgpr62_sgpr63
                                        ; implicit-def: $sgpr8_sgpr9
                                        ; implicit-def: $sgpr6_sgpr7
	s_branch .LBB7_21
.LBB7_20:                               ;   in Loop: Header=BB7_21 Depth=2
	s_or_b64 exec, exec, s[10:11]
	s_and_b64 s[10:11], exec, s[8:9]
	s_or_b64 s[4:5], s[10:11], s[4:5]
	s_andn2_b64 s[10:11], s[62:63], exec
	s_and_b64 s[12:13], s[6:7], exec
	s_or_b64 s[62:63], s[10:11], s[12:13]
	s_andn2_b64 exec, exec, s[4:5]
	s_cbranch_execz .LBB7_23
.LBB7_21:                               ;   Parent Loop BB7_15 Depth=1
                                        ; =>  This Inner Loop Header: Depth=2
	v_cmp_lt_i32_e32 vcc, 0, v15
	s_or_b64 s[6:7], s[6:7], exec
	s_or_b64 s[8:9], s[8:9], exec
	s_and_saveexec_b64 s[10:11], vcc
	s_cbranch_execz .LBB7_20
; %bb.22:                               ;   in Loop: Header=BB7_21 Depth=2
	v_add_u32_e32 v15, -1, v15
	v_lshlrev_b64 v[2:3], 2, v[15:16]
	s_andn2_b64 s[8:9], s[8:9], exec
	v_add_co_u32_e32 v4, vcc, v41, v2
	v_addc_co_u32_e32 v5, vcc, v42, v3, vcc
	v_add_co_u32_e32 v2, vcc, v0, v2
	v_addc_co_u32_e32 v3, vcc, v1, v3, vcc
	global_load_dword v4, v[4:5], off
	s_andn2_b64 s[6:7], s[6:7], exec
	flat_load_dword v2, v[2:3]
	s_waitcnt vmcnt(0) lgkmcnt(0)
	v_cmp_ne_u32_e32 vcc, v4, v2
	s_and_b64 s[12:13], vcc, exec
	s_or_b64 s[8:9], s[8:9], s[12:13]
	s_branch .LBB7_20
.LBB7_23:                               ;   in Loop: Header=BB7_15 Depth=1
	s_or_b64 exec, exec, s[4:5]
	s_mov_b64 s[4:5], -1
	s_mov_b64 s[6:7], 0
	s_mov_b64 s[8:9], 0
	s_mov_b64 s[10:11], 0
	s_mov_b64 s[12:13], 0
	s_mov_b64 s[14:15], 0
	s_mov_b64 s[16:17], 0
	s_mov_b64 s[18:19], 0
	s_mov_b64 s[20:21], 0
	s_mov_b64 s[22:23], 0
	s_mov_b64 s[24:25], 0
	s_mov_b64 s[26:27], 0
	s_mov_b64 s[28:29], 0
	s_mov_b64 s[30:31], 0
	s_mov_b64 s[34:35], 0
	s_mov_b64 s[36:37], 0
	s_mov_b64 s[38:39], 0
	s_mov_b64 s[40:41], 0
	s_mov_b64 s[42:43], 0
	s_mov_b64 s[44:45], 0
	s_mov_b64 s[46:47], 0
	s_mov_b64 s[48:49], 0
	s_mov_b64 s[50:51], 0
	s_mov_b64 s[52:53], 0
	s_mov_b64 s[54:55], 0
	s_mov_b64 s[56:57], 0
	s_mov_b64 s[58:59], 0
	s_mov_b64 s[60:61], 0
	s_mov_b64 s[64:65], exec
	s_and_b64 s[62:63], s[64:65], s[62:63]
	s_xor_b64 s[64:65], s[62:63], s[64:65]
	v_writelane_b32 v61, s64, 42
	v_writelane_b32 v61, s65, 43
	s_or_saveexec_b64 s[100:101], -1
	s_mov_b32 s33, 0x282000
	buffer_load_dword v62, off, s[0:3], s33 ; 4-byte Folded Reload
	s_mov_b64 exec, s[100:101]
	s_waitcnt vmcnt(0)
	v_readlane_b32 s88, v62, 40
	v_readlane_b32 s90, v61, 40
	;; [unrolled: 1-line block ×4, first 2 shown]
	s_mov_b64 exec, s[62:63]
	s_cbranch_execz .LBB7_12
; %bb.24:                               ;   in Loop: Header=BB7_15 Depth=1
	buffer_load_dword v2, v43, s[0:3], 0 offen
	s_mov_b64 s[4:5], 0
	s_waitcnt vmcnt(0)
	v_cmp_lt_i32_e32 vcc, 0, v2
	s_and_saveexec_b64 s[6:7], vcc
	s_xor_b64 s[6:7], exec, s[6:7]
	s_cbranch_execz .LBB7_28
; %bb.25:                               ;   in Loop: Header=BB7_15 Depth=1
	v_cmp_eq_u32_e32 vcc, 1, v2
	s_mov_b64 s[10:11], -1
	s_and_saveexec_b64 s[8:9], vcc
	s_cbranch_execz .LBB7_27
; %bb.26:                               ;   in Loop: Header=BB7_15 Depth=1
	buffer_load_dword v0, v43, s[0:3], 0 offen offset:4
	buffer_load_dword v1, v43, s[0:3], 0 offen offset:8
	s_waitcnt vmcnt(0)
	flat_load_dword v0, v[0:1]
	s_waitcnt vmcnt(0) lgkmcnt(0)
	v_cmp_eq_u32_e32 vcc, 0, v0
	v_cmp_ne_u32_e64 s[4:5], 0, v0
	s_and_b64 s[12:13], vcc, exec
	s_orn2_b64 s[10:11], s[4:5], exec
.LBB7_27:                               ;   in Loop: Header=BB7_15 Depth=1
	s_or_b64 exec, exec, s[8:9]
	s_and_b64 s[4:5], s[12:13], exec
	s_and_b64 s[8:9], s[10:11], exec
.LBB7_28:                               ;   in Loop: Header=BB7_15 Depth=1
	s_andn2_saveexec_b64 s[6:7], s[6:7]
; %bb.29:                               ;   in Loop: Header=BB7_15 Depth=1
	v_cmp_ne_u32_e32 vcc, 0, v2
	s_andn2_b64 s[8:9], s[8:9], exec
	s_and_b64 s[10:11], vcc, exec
	s_or_b64 s[4:5], s[4:5], exec
	s_or_b64 s[8:9], s[8:9], s[10:11]
; %bb.30:                               ;   in Loop: Header=BB7_15 Depth=1
	s_or_b64 exec, exec, s[6:7]
	s_mov_b64 s[6:7], 0
	v_writelane_b32 v61, s6, 44
	v_writelane_b32 v61, s7, 45
	s_mov_b64 s[6:7], 0
	v_writelane_b32 v61, s6, 50
	v_writelane_b32 v61, s7, 51
	;; [unrolled: 3-line block ×4, first 2 shown]
	s_and_saveexec_b64 s[6:7], s[8:9]
	s_cbranch_execz .LBB7_45
; %bb.31:                               ;   in Loop: Header=BB7_15 Depth=1
	v_cmp_lt_i32_e32 vcc, 0, v2
	s_mov_b64 s[14:15], -1
	v_mov_b32_e32 v3, -1
	s_mov_b64 s[12:13], 0
	s_mov_b64 s[8:9], 0
	s_and_saveexec_b64 s[10:11], vcc
	s_cbranch_execz .LBB7_35
; %bb.32:                               ;   in Loop: Header=BB7_15 Depth=1
	buffer_load_dword v0, v43, s[0:3], 0 offen offset:44
	s_movk_i32 s8, 0x2001
	s_mov_b64 s[14:15], 0
	v_mov_b32_e32 v3, -1
	s_waitcnt vmcnt(0)
	v_add_u32_e32 v1, v0, v2
	v_cmp_gt_i32_e32 vcc, s8, v1
	s_and_saveexec_b64 s[8:9], vcc
	s_cbranch_execz .LBB7_34
; %bb.33:                               ;   in Loop: Header=BB7_15 Depth=1
	v_lshlrev_b32_e32 v0, 2, v0
	s_movk_i32 s16, 0x1050
	s_mov_b64 s[14:15], exec
	v_add3_u32 v3, s16, v0, 4
	buffer_store_dword v1, v43, s[0:3], 0 offen offset:44
.LBB7_34:                               ;   in Loop: Header=BB7_15 Depth=1
	s_or_b64 exec, exec, s[8:9]
	s_mov_b64 s[8:9], exec
	s_orn2_b64 s[14:15], s[14:15], exec
.LBB7_35:                               ;   in Loop: Header=BB7_15 Depth=1
	s_or_b64 exec, exec, s[10:11]
	s_mov_b64 s[16:17], 0
	s_and_saveexec_b64 s[10:11], s[14:15]
	s_cbranch_execz .LBB7_44
; %bb.36:                               ;   in Loop: Header=BB7_15 Depth=1
	v_cmp_ne_u32_e32 vcc, -1, v3
	s_mov_b64 s[16:17], -1
	s_mov_b64 s[14:15], 0
	s_and_saveexec_b64 s[12:13], vcc
	s_cbranch_execz .LBB7_43
; %bb.37:                               ;   in Loop: Header=BB7_15 Depth=1
	v_cmp_lt_i32_e32 vcc, 0, v2
	s_and_saveexec_b64 s[14:15], vcc
	s_cbranch_execz .LBB7_42
; %bb.38:                               ;   in Loop: Header=BB7_15 Depth=1
	buffer_load_dword v0, v43, s[0:3], 0 offen offset:4
	buffer_load_dword v1, v43, s[0:3], 0 offen offset:8
	s_mov_b64 s[16:17], 0
	v_mov_b32_e32 v4, v2
	v_mov_b32_e32 v5, v3
.LBB7_39:                               ;   Parent Loop BB7_15 Depth=1
                                        ; =>  This Inner Loop Header: Depth=2
	s_waitcnt vmcnt(0)
	flat_load_dword v6, v[0:1]
	v_add_co_u32_e32 v0, vcc, 4, v0
	v_add_u32_e32 v4, -1, v4
	v_addc_co_u32_e32 v1, vcc, 0, v1, vcc
	v_cmp_eq_u32_e32 vcc, 0, v4
	s_or_b64 s[16:17], vcc, s[16:17]
	s_waitcnt vmcnt(0) lgkmcnt(0)
	buffer_store_dword v6, v5, s[0:3], 0 offen
	v_add_u32_e32 v5, 4, v5
	s_andn2_b64 exec, exec, s[16:17]
	s_cbranch_execnz .LBB7_39
; %bb.40:                               ;   in Loop: Header=BB7_15 Depth=1
	s_or_b64 exec, exec, s[16:17]
	s_mov_b64 s[16:17], 0
	v_mov_b32_e32 v0, v2
	v_readlane_b32 s18, v62, 13
.LBB7_41:                               ;   Parent Loop BB7_15 Depth=1
                                        ; =>  This Inner Loop Header: Depth=2
	buffer_load_dword v1, v3, s[0:3], 0 offen
	v_add_u32_e32 v0, -1, v0
	v_mov_b32_e32 v4, s18
	s_add_i32 s18, s18, 4
	v_cmp_eq_u32_e32 vcc, 0, v0
	v_add_u32_e32 v3, 4, v3
	s_or_b64 s[16:17], vcc, s[16:17]
	s_waitcnt vmcnt(0)
	buffer_store_dword v1, v4, s[0:3], 0 offen
	s_andn2_b64 exec, exec, s[16:17]
	s_cbranch_execnz .LBB7_41
.LBB7_42:                               ;   in Loop: Header=BB7_15 Depth=1
	s_or_b64 exec, exec, s[14:15]
	buffer_load_dword v0, v43, s[0:3], 0 offen offset:44
	s_mov_b64 s[18:19], exec
	s_xor_b64 s[16:17], exec, -1
	s_waitcnt vmcnt(0)
	v_cmp_ge_i32_e32 vcc, v0, v2
	s_and_b64 s[14:15], vcc, exec
.LBB7_43:                               ;   in Loop: Header=BB7_15 Depth=1
	s_or_b64 exec, exec, s[12:13]
	s_and_b64 s[18:19], s[18:19], exec
	s_and_b64 s[16:17], s[16:17], exec
	s_andn2_b64 s[8:9], s[8:9], exec
	s_and_b64 s[12:13], s[14:15], exec
.LBB7_44:                               ;   in Loop: Header=BB7_15 Depth=1
	s_or_b64 exec, exec, s[10:11]
	s_and_b64 s[10:11], s[18:19], exec
	v_writelane_b32 v61, s10, 46
	v_writelane_b32 v61, s11, 47
	s_and_b64 s[10:11], s[16:17], exec
	v_writelane_b32 v61, s10, 48
	v_writelane_b32 v61, s11, 49
	;; [unrolled: 3-line block ×3, first 2 shown]
	s_and_b64 s[44:45], s[12:13], exec
	s_andn2_b64 s[4:5], s[4:5], exec
.LBB7_45:                               ;   in Loop: Header=BB7_15 Depth=1
	s_or_b64 exec, exec, s[6:7]
	s_and_saveexec_b64 s[6:7], s[4:5]
	s_cbranch_execz .LBB7_47
; %bb.46:                               ;   in Loop: Header=BB7_15 Depth=1
	buffer_load_dword v0, v43, s[0:3], 0 offen offset:44
	s_mov_b64 s[4:5], exec
	v_writelane_b32 v61, s4, 44
	v_writelane_b32 v61, s5, 45
	v_readlane_b32 s4, v61, 46
	v_readlane_b32 s5, v61, 47
	s_andn2_b64 s[4:5], s[4:5], exec
	v_writelane_b32 v61, s4, 46
	v_writelane_b32 v61, s5, 47
	v_readlane_b32 s4, v61, 48
	v_readlane_b32 s5, v61, 49
	s_andn2_b64 s[4:5], s[4:5], exec
	;; [unrolled: 5-line block ×3, first 2 shown]
	v_writelane_b32 v61, s4, 50
	v_writelane_b32 v61, s5, 51
	s_andn2_b64 s[4:5], s[44:45], exec
	buffer_store_dword v16, v43, s[0:3], 0 offen offset:48
	s_waitcnt vmcnt(1)
	v_cmp_ge_i32_e32 vcc, v0, v2
	s_and_b64 s[8:9], vcc, exec
	s_or_b64 s[44:45], s[4:5], s[8:9]
.LBB7_47:                               ;   in Loop: Header=BB7_15 Depth=1
	s_or_b64 exec, exec, s[6:7]
	s_mov_b64 s[4:5], -1
	s_mov_b64 s[6:7], 0
	s_mov_b64 s[8:9], 0
	;; [unrolled: 1-line block ×23, first 2 shown]
	s_and_saveexec_b64 s[56:57], s[44:45]
	s_cbranch_execz .LBB7_11
; %bb.48:                               ;   in Loop: Header=BB7_15 Depth=1
	v_writelane_b32 v61, s56, 52
	v_writelane_b32 v61, s57, 53
	s_mov_b64 s[44:45], -1
	buffer_store_dword v2, v43, s[0:3], 0 offen offset:44
	v_cmp_gt_i32_e32 vcc, 16, v40
	s_mov_b64 s[6:7], exec
	v_writelane_b32 v61, s6, 54
	v_writelane_b32 v61, s7, 55
	s_and_b64 s[6:7], s[6:7], vcc
	s_mov_b64 exec, s[6:7]
	s_cbranch_execz .LBB7_10
; %bb.49:                               ;   in Loop: Header=BB7_15 Depth=1
	v_mov_b32_e32 v0, 0x9058
	v_cmp_lt_i32_e32 vcc, 0, v2
	s_mov_b64 s[4:5], 0
	s_mov_b64 s[98:99], 0
	buffer_store_dword v40, v0, s[0:3], 0 offen
                                        ; implicit-def: $vgpr6
	s_and_saveexec_b64 s[6:7], vcc
	s_xor_b64 s[6:7], exec, s[6:7]
	s_cbranch_execz .LBB7_55
; %bb.50:                               ;   in Loop: Header=BB7_15 Depth=1
	v_cmp_eq_u32_e32 vcc, 1, v2
	s_mov_b64 s[4:5], -1
                                        ; implicit-def: $vgpr6
	s_and_saveexec_b64 s[8:9], vcc
	s_cbranch_execz .LBB7_54
; %bb.51:                               ;   in Loop: Header=BB7_15 Depth=1
	buffer_load_dword v0, v43, s[0:3], 0 offen offset:48
                                        ; implicit-def: $vgpr6
	s_waitcnt vmcnt(0)
	v_cmp_ne_u32_e32 vcc, 0, v0
	v_cmp_eq_u32_e64 s[4:5], 0, v0
	s_and_saveexec_b64 s[12:13], s[4:5]
	s_xor_b64 s[4:5], exec, s[12:13]
	s_cbranch_execz .LBB7_53
; %bb.52:                               ;   in Loop: Header=BB7_15 Depth=1
	v_add_u32_e32 v6, 1, v40
	v_mov_b32_e32 v0, 0x9058
	s_mov_b64 s[10:11], exec
	buffer_store_dword v6, v0, s[0:3], 0 offen
	v_lshl_add_u32 v0, v40, 3, v60
	buffer_store_dword v16, v0, s[0:3], 0 offen offset:12
	buffer_store_dword v16, v0, s[0:3], 0 offen offset:8
.LBB7_53:                               ;   in Loop: Header=BB7_15 Depth=1
	s_or_b64 exec, exec, s[4:5]
	s_and_b64 s[10:11], s[10:11], exec
	s_orn2_b64 s[4:5], vcc, exec
.LBB7_54:                               ;   in Loop: Header=BB7_15 Depth=1
	s_or_b64 exec, exec, s[8:9]
	s_and_b64 s[98:99], s[10:11], exec
	s_and_b64 s[4:5], s[4:5], exec
.LBB7_55:                               ;   in Loop: Header=BB7_15 Depth=1
	s_andn2_saveexec_b64 s[6:7], s[6:7]
; %bb.56:                               ;   in Loop: Header=BB7_15 Depth=1
	v_cmp_ne_u32_e32 vcc, 0, v2
	s_andn2_b64 s[4:5], s[4:5], exec
	s_and_b64 s[8:9], vcc, exec
	s_mov_b64 s[18:19], exec
	s_or_b64 s[4:5], s[4:5], s[8:9]
; %bb.57:                               ;   in Loop: Header=BB7_15 Depth=1
	s_or_b64 exec, exec, s[6:7]
	s_mov_b32 s6, 0x281c00
	buffer_load_dword v0, off, s[0:3], s6   ; 4-byte Folded Reload
	buffer_load_dword v1, off, s[0:3], s6 offset:4 ; 4-byte Folded Reload
	s_mov_b64 s[6:7], 0
	v_writelane_b32 v61, s6, 56
	v_writelane_b32 v61, s7, 57
	s_mov_b64 s[6:7], 0
	v_readlane_b32 s8, v62, 18
	v_writelane_b32 v61, s6, 58
	v_readlane_b32 s10, v62, 20
	v_readlane_b32 s11, v62, 21
	v_writelane_b32 v61, s7, 59
	s_mov_b64 s[6:7], 0
	v_mov_b32_e32 v3, s11
	v_writelane_b32 v61, s6, 60
	s_mov_b64 s[56:57], -1
	v_writelane_b32 v61, s7, 61
	v_mov_b32_e32 v44, v6
	v_readlane_b32 s9, v62, 19
	v_readlane_b32 s12, v62, 22
	;; [unrolled: 1-line block ×5, first 2 shown]
	s_waitcnt vmcnt(1)
	v_lshlrev_b32_e32 v0, 4, v0
	s_waitcnt vmcnt(0)
	v_ashrrev_i32_e32 v1, 31, v0
	v_lshlrev_b64 v[0:1], 2, v[0:1]
	v_add_co_u32_e32 v18, vcc, s10, v0
	v_addc_co_u32_e32 v19, vcc, v3, v1, vcc
	s_and_saveexec_b64 s[20:21], s[4:5]
                                        ; implicit-def: $vgpr63 : SGPR spill to VGPR lane
	s_cbranch_execz .LBB7_77
; %bb.58:                               ;   in Loop: Header=BB7_15 Depth=1
	v_cmp_lt_i32_e32 vcc, 0, v2
	v_mov_b32_e32 v0, -1
	s_mov_b64 s[8:9], -1
	s_mov_b64 s[6:7], 0
	s_mov_b64 s[16:17], -1
	s_mov_b64 s[12:13], 0
	buffer_store_dword v16, v43, s[0:3], 0 offen offset:32
	s_and_saveexec_b64 s[4:5], vcc
	s_cbranch_execz .LBB7_62
; %bb.59:                               ;   in Loop: Header=BB7_15 Depth=1
	s_movk_i32 s8, 0x1001
	v_cmp_gt_u32_e32 vcc, s8, v2
	s_mov_b64 s[8:9], 0
	v_mov_b32_e32 v0, -1
	s_and_saveexec_b64 s[10:11], vcc
	s_cbranch_execz .LBB7_61
; %bb.60:                               ;   in Loop: Header=BB7_15 Depth=1
	v_lshlrev_b32_e32 v0, 1, v2
	buffer_store_dword v0, v43, s[0:3], 0 offen offset:44
	v_mov_b32_e32 v0, 0x1050
	v_lshl_add_u32 v0, v2, 3, v0
	v_lshlrev_b32_e32 v1, 2, v2
	v_sub_u32_e32 v0, v0, v1
	s_mov_b64 s[8:9], exec
	v_add_u32_e32 v0, 4, v0
.LBB7_61:                               ;   in Loop: Header=BB7_15 Depth=1
	s_or_b64 exec, exec, s[10:11]
	s_mov_b64 s[12:13], exec
	s_xor_b64 s[16:17], exec, -1
	s_orn2_b64 s[8:9], s[8:9], exec
.LBB7_62:                               ;   in Loop: Header=BB7_15 Depth=1
	s_or_b64 exec, exec, s[4:5]
	s_mov_b64 s[4:5], s[98:99]
	s_mov_b64 s[14:15], 0
                                        ; implicit-def: $vgpr6
                                        ; implicit-def: $vgpr44
	s_and_saveexec_b64 s[26:27], s[8:9]
	s_cbranch_execz .LBB7_76
; %bb.63:                               ;   in Loop: Header=BB7_15 Depth=1
	v_readlane_b32 s4, v62, 4
	v_readlane_b32 s5, v62, 5
	v_cmp_ne_u32_e32 vcc, -1, v0
	v_mov_b32_e32 v3, s5
	v_cndmask_b32_e32 v1, 0, v0, vcc
	v_cndmask_b32_e32 v3, 0, v3, vcc
	v_cmp_lt_i32_e32 vcc, 0, v2
	buffer_store_dword v3, v43, s[0:3], 0 offen offset:40
	buffer_store_dword v1, v43, s[0:3], 0 offen offset:36
	s_and_saveexec_b64 s[4:5], vcc
	s_cbranch_execz .LBB7_67
; %bb.64:                               ;   in Loop: Header=BB7_15 Depth=1
	v_mov_b32_e32 v1, v2
	v_readlane_b32 s8, v62, 13
.LBB7_65:                               ;   Parent Loop BB7_15 Depth=1
                                        ; =>  This Inner Loop Header: Depth=2
	v_mov_b32_e32 v3, s8
	buffer_load_dword v3, v3, s[0:3], 0 offen
	v_add_u32_e32 v1, -1, v1
	s_add_i32 s8, s8, 4
	v_cmp_eq_u32_e32 vcc, 0, v1
	s_or_b64 s[6:7], vcc, s[6:7]
	s_waitcnt vmcnt(0)
	v_lshrrev_b32_e32 v4, 1, v3
	v_or_b32_e32 v4, v4, v3
	v_and_b32_e32 v4, 0x55555555, v4
	v_lshl_add_u32 v4, v4, 1, v4
	v_xor_b32_e32 v3, v4, v3
	buffer_store_dword v3, v0, s[0:3], 0 offen
	v_add_u32_e32 v0, 4, v0
	s_andn2_b64 exec, exec, s[6:7]
	s_cbranch_execnz .LBB7_65
; %bb.66:                               ;   in Loop: Header=BB7_15 Depth=1
	s_or_b64 exec, exec, s[6:7]
	buffer_store_dword v2, v43, s[0:3], 0 offen offset:32
.LBB7_67:                               ;   in Loop: Header=BB7_15 Depth=1
	v_writelane_b32 v61, s26, 62
	v_writelane_b32 v61, s27, 63
	;; [unrolled: 1-line block ×4, first 2 shown]
	s_or_saveexec_b64 s[100:101], -1
	s_mov_b32 s6, 0x282300
	buffer_store_dword v63, off, s[0:3], s6 ; 4-byte Folded Spill
	s_mov_b64 exec, s[100:101]
	v_writelane_b32 v61, s12, 60
	v_writelane_b32 v61, s13, 61
	;; [unrolled: 1-line block ×6, first 2 shown]
	s_or_b64 exec, exec, s[4:5]
	s_mov_b32 s4, 0x282400
	s_add_u32 s8, s88, 0x80
	v_readlane_b32 s6, v62, 4
	buffer_store_dword v18, off, s[0:3], s4 ; 4-byte Folded Spill
	s_nop 0
	buffer_store_dword v19, off, s[0:3], s4 offset:4 ; 4-byte Folded Spill
	s_mov_b32 s4, 0x282600
	s_addc_u32 s9, s89, 0
	v_readlane_b32 s7, v62, 5
	buffer_store_dword v15, off, s[0:3], s4 ; 4-byte Folded Spill
	s_nop 0
	buffer_store_dword v16, off, s[0:3], s4 offset:4 ; 4-byte Folded Spill
	v_lshlrev_b32_e32 v2, 1, v40
	s_getpc_b64 s[4:5]
	s_add_u32 s4, s4, _ZN3sop12sopFactorRecEPNS_3SopEiP7VecsMemIjLi8192EEPN8subgUtil4SubgILi256EEE@rel32@lo+4
	s_addc_u32 s5, s5, _ZN3sop12sopFactorRecEPNS_3SopEiP7VecsMemIjLi8192EEPN8subgUtil4SubgILi256EEE@rel32@hi+12
	v_mov_b32_e32 v0, 0x1040
	v_mov_b32_e32 v1, s7
	;; [unrolled: 1-line block ×6, first 2 shown]
	s_swappc_b64 s[30:31], s[4:5]
	v_mov_b32_e32 v1, 0x9058
	buffer_load_dword v6, v1, s[0:3], 0 offen
	v_ashrrev_i32_e32 v1, 1, v0
	v_cmp_ge_i32_e32 vcc, v1, v40
	s_mov_b64 s[4:5], s[98:99]
                                        ; implicit-def: $vgpr44
	s_and_saveexec_b64 s[6:7], vcc
	s_xor_b64 s[6:7], exec, s[6:7]
; %bb.68:                               ;   in Loop: Header=BB7_15 Depth=1
	v_add_u32_e32 v44, 1, v40
	s_or_b64 s[4:5], s[98:99], exec
                                        ; implicit-def: $vgpr1
                                        ; implicit-def: $vgpr0
; %bb.69:                               ;   in Loop: Header=BB7_15 Depth=1
	s_or_saveexec_b64 s[6:7], s[6:7]
	s_mov_b64 s[10:11], 0
	s_or_saveexec_b64 s[100:101], -1
	s_mov_b32 s8, 0x282300
	buffer_load_dword v63, off, s[0:3], s8  ; 4-byte Folded Reload
	s_mov_b64 exec, s[100:101]
	s_waitcnt vmcnt(0)
	v_readlane_b32 s24, v63, 0
	v_readlane_b32 s22, v61, 60
	;; [unrolled: 1-line block ×4, first 2 shown]
	s_mov_b64 s[8:9], s[24:25]
	s_mov_b64 s[12:13], s[22:23]
	;; [unrolled: 1-line block ×3, first 2 shown]
	s_or_saveexec_b64 s[100:101], -1
	s_mov_b32 s16, 0x282000
	buffer_load_dword v62, off, s[0:3], s16 ; 4-byte Folded Reload
	s_mov_b64 exec, s[100:101]
	s_mov_b32 s16, 0x282600
	buffer_load_dword v15, off, s[0:3], s16 ; 4-byte Folded Reload
	buffer_load_dword v16, off, s[0:3], s16 offset:4 ; 4-byte Folded Reload
	s_mov_b32 s16, 0x282400
	buffer_load_dword v18, off, s[0:3], s16 ; 4-byte Folded Reload
	buffer_load_dword v19, off, s[0:3], s16 offset:4 ; 4-byte Folded Reload
	s_waitcnt vmcnt(4)
	v_readlane_b32 s88, v62, 40
	v_readlane_b32 s90, v61, 40
	;; [unrolled: 1-line block ×10, first 2 shown]
	s_xor_b64 exec, exec, s[6:7]
	s_cbranch_execz .LBB7_75
; %bb.70:                               ;   in Loop: Header=BB7_15 Depth=1
	v_cmp_eq_u32_e32 vcc, v6, v40
	s_mov_b64 s[12:13], -1
	s_mov_b64 s[16:17], s[4:5]
                                        ; implicit-def: $vgpr6
	s_and_saveexec_b64 s[8:9], vcc
	s_cbranch_execz .LBB7_74
; %bb.71:                               ;   in Loop: Header=BB7_15 Depth=1
	v_ashrrev_i32_e32 v2, 31, v1
	v_lshlrev_b64 v[1:2], 2, v[1:2]
	s_mov_b64 s[14:15], s[4:5]
	s_waitcnt vmcnt(1)
	v_add_co_u32_e32 v1, vcc, v18, v1
	s_waitcnt vmcnt(0)
	v_addc_co_u32_e32 v2, vcc, v19, v2, vcc
	global_load_dword v1, v[1:2], off
                                        ; implicit-def: $vgpr6
	s_waitcnt vmcnt(0)
	v_lshlrev_b32_e32 v1, 1, v1
	v_cmp_lt_i32_e32 vcc, -1, v1
	s_and_saveexec_b64 s[10:11], vcc
	s_xor_b64 s[10:11], exec, s[10:11]
	s_cbranch_execz .LBB7_73
; %bb.72:                               ;   in Loop: Header=BB7_15 Depth=1
	v_and_b32_e32 v0, 1, v0
	v_add_u32_e32 v6, 1, v40
	v_mov_b32_e32 v2, 0x9058
	v_or_b32_e32 v1, v1, v0
	buffer_store_dword v6, v2, s[0:3], 0 offen
	v_lshl_add_u32 v2, v40, 3, v60
	v_lshl_or_b32 v0, v1, 1, v0
	buffer_store_dword v1, v2, s[0:3], 0 offen offset:12
	buffer_store_dword v0, v2, s[0:3], 0 offen offset:8
	s_or_b64 s[14:15], s[4:5], exec
.LBB7_73:                               ;   in Loop: Header=BB7_15 Depth=1
	s_or_b64 exec, exec, s[10:11]
	s_andn2_b64 s[16:17], s[4:5], exec
	s_and_b64 s[14:15], s[14:15], exec
	s_mov_b64 s[10:11], exec
	s_xor_b64 s[12:13], exec, -1
	s_or_b64 s[16:17], s[16:17], s[14:15]
.LBB7_74:                               ;   in Loop: Header=BB7_15 Depth=1
	s_or_b64 exec, exec, s[8:9]
	s_andn2_b64 s[4:5], s[4:5], exec
	s_and_b64 s[16:17], s[16:17], exec
	s_and_b64 s[14:15], s[10:11], exec
	;; [unrolled: 1-line block ×3, first 2 shown]
	s_andn2_b64 s[12:13], s[22:23], exec
	s_andn2_b64 s[8:9], s[24:25], exec
	s_or_b64 s[4:5], s[4:5], s[16:17]
	v_mov_b32_e32 v44, v6
.LBB7_75:                               ;   in Loop: Header=BB7_15 Depth=1
	s_or_b64 exec, exec, s[6:7]
	s_and_b64 s[6:7], s[10:11], exec
	s_andn2_b64 s[10:11], s[22:23], exec
	s_and_b64 s[12:13], s[12:13], exec
	s_or_b64 s[12:13], s[10:11], s[12:13]
	s_andn2_b64 s[10:11], s[24:25], exec
	s_and_b64 s[8:9], s[8:9], exec
	s_or_b64 s[16:17], s[10:11], s[8:9]
	s_andn2_b64 s[8:9], s[98:99], exec
	s_and_b64 s[4:5], s[4:5], exec
	s_and_b64 s[14:15], s[14:15], exec
	s_or_b64 s[4:5], s[8:9], s[4:5]
.LBB7_76:                               ;   in Loop: Header=BB7_15 Depth=1
	s_or_b64 exec, exec, s[26:27]
	s_and_b64 s[8:9], s[14:15], exec
	v_writelane_b32 v61, s8, 60
	v_writelane_b32 v61, s9, 61
	s_and_b64 s[6:7], s[6:7], exec
	v_writelane_b32 v61, s6, 58
	v_writelane_b32 v61, s7, 59
	;; [unrolled: 3-line block ×3, first 2 shown]
	s_andn2_b64 s[6:7], s[98:99], exec
	s_and_b64 s[4:5], s[4:5], exec
	s_orn2_b64 s[56:57], s[16:17], exec
	s_or_b64 s[98:99], s[6:7], s[4:5]
	s_andn2_b64 s[18:19], s[18:19], exec
.LBB7_77:                               ;   in Loop: Header=BB7_15 Depth=1
	s_or_b64 exec, exec, s[20:21]
	s_and_saveexec_b64 s[4:5], s[18:19]
	s_cbranch_execz .LBB7_79
; %bb.78:                               ;   in Loop: Header=BB7_15 Depth=1
	v_add_u32_e32 v6, 1, v40
	v_mov_b32_e32 v0, 0x9058
	s_mov_b32 s6, 0x9058
	buffer_store_dword v6, v0, s[0:3], 0 offen
	v_lshl_add_u32 v0, v40, 3, s6
	v_mov_b32_e32 v1, 1
	buffer_store_dword v1, v0, s[0:3], 0 offen offset:12
	v_mov_b32_e32 v1, 3
	s_or_b64 s[98:99], s[98:99], exec
	v_mov_b32_e32 v44, v6
	buffer_store_dword v1, v0, s[0:3], 0 offen offset:8
.LBB7_79:                               ;   in Loop: Header=BB7_15 Depth=1
	s_or_b64 exec, exec, s[4:5]
	s_mov_b64 s[6:7], -1
	s_mov_b64 s[4:5], 0
	s_mov_b64 s[8:9], 0
	;; [unrolled: 1-line block ×19, first 2 shown]
	s_mov_b64 s[46:47], exec
	v_writelane_b32 v63, s46, 0
	v_writelane_b32 v63, s47, 1
	s_and_b64 s[46:47], s[46:47], s[98:99]
	s_mov_b64 exec, s[46:47]
	s_cbranch_execz .LBB7_9
; %bb.80:                               ;   in Loop: Header=BB7_15 Depth=1
	v_writelane_b32 v61, s56, 62
	v_writelane_b32 v61, s57, 63
	v_cmp_ne_u32_e64 s[4:5], v6, v44
	v_cmp_eq_u32_e32 vcc, v6, v44
	s_and_saveexec_b64 s[6:7], vcc
	s_cbranch_execz .LBB7_82
; %bb.81:                               ;   in Loop: Header=BB7_15 Depth=1
	v_lshl_add_u32 v0, v40, 3, v60
	buffer_load_dword v1, v0, s[0:3], 0 offen offset:8
	s_nop 0
	buffer_load_dword v0, v0, s[0:3], 0 offen offset:12
	s_andn2_b64 s[4:5], s[4:5], exec
	s_mov_b64 s[8:9], exec
	s_waitcnt vmcnt(1)
	v_lshrrev_b32_e32 v1, 1, v1
	s_waitcnt vmcnt(0)
	v_cmp_ne_u32_e32 vcc, v1, v0
	s_and_b64 s[10:11], vcc, exec
	s_or_b64 s[4:5], s[4:5], s[10:11]
.LBB7_82:                               ;   in Loop: Header=BB7_15 Depth=1
	s_or_b64 exec, exec, s[6:7]
	v_readlane_b32 s6, v61, 56
	v_readlane_b32 s7, v61, 57
	v_writelane_b32 v63, s6, 2
	v_writelane_b32 v63, s7, 3
	v_readlane_b32 s6, v61, 58
	v_readlane_b32 s7, v61, 59
	v_writelane_b32 v63, s6, 4
	v_writelane_b32 v63, s7, 5
	v_readlane_b32 s6, v61, 60
	v_readlane_b32 s7, v61, 61
	v_writelane_b32 v63, s6, 6
	v_readlane_b32 s50, v61, 62
	v_writelane_b32 v63, s7, 7
	s_mov_b64 s[6:7], 0
	v_readlane_b32 s51, v61, 63
	v_writelane_b32 v63, s6, 8
	v_mov_b32_e32 v4, 0
	s_mov_b64 s[52:53], s[50:51]
	v_writelane_b32 v63, s7, 9
	s_and_saveexec_b64 s[10:11], s[4:5]
	s_cbranch_execz .LBB7_117
; %bb.83:                               ;   in Loop: Header=BB7_15 Depth=1
	v_cmp_lt_i32_e32 vcc, 0, v40
	s_and_saveexec_b64 s[4:5], vcc
	v_readlane_b32 s16, v62, 32
	v_readlane_b32 s17, v62, 33
	;; [unrolled: 1-line block ×8, first 2 shown]
	s_cbranch_execz .LBB7_86
; %bb.84:                               ;   in Loop: Header=BB7_15 Depth=1
	s_waitcnt vmcnt(0)
	v_mov_b32_e32 v0, v18
	s_movk_i32 s12, 0xc20
	s_movk_i32 s13, 0x820
	s_mov_b64 s[6:7], 0
	v_mov_b32_e32 v1, v19
	v_mov_b32_e32 v2, v40
.LBB7_85:                               ;   Parent Loop BB7_15 Depth=1
                                        ; =>  This Inner Loop Header: Depth=2
	global_load_dword v3, v[0:1], off
	v_mov_b32_e32 v7, s17
	v_add_u32_e32 v2, -1, v2
	s_waitcnt vmcnt(0)
	v_ashrrev_i32_e32 v4, 31, v3
	v_lshlrev_b64 v[4:5], 2, v[3:4]
	v_add_co_u32_e32 v4, vcc, s16, v4
	v_addc_co_u32_e32 v5, vcc, v7, v5, vcc
	global_load_dword v4, v[4:5], off
	v_add_co_u32_e32 v0, vcc, 4, v0
	v_addc_co_u32_e32 v1, vcc, 0, v1, vcc
	v_mov_b32_e32 v5, s13
	v_mov_b32_e32 v7, s12
	s_add_i32 s12, s12, 4
	s_add_i32 s13, s13, 4
	v_cmp_eq_u32_e32 vcc, 0, v2
	s_or_b64 s[6:7], vcc, s[6:7]
	buffer_store_dword v3, v5, s[0:3], 0 offen
	s_waitcnt vmcnt(1)
	buffer_store_dword v4, v7, s[0:3], 0 offen
	s_andn2_b64 exec, exec, s[6:7]
	s_cbranch_execnz .LBB7_85
.LBB7_86:                               ;   in Loop: Header=BB7_15 Depth=1
	s_or_b64 exec, exec, s[4:5]
	v_readlane_b32 s6, v61, 62
	v_readlane_b32 s14, v61, 56
	;; [unrolled: 1-line block ×4, first 2 shown]
	v_cmp_lt_i32_e32 vcc, v40, v6
	s_mov_b64 s[24:25], -1
	v_mov_b32_e32 v0, 0
	s_mov_b64 s[4:5], 0
	v_readlane_b32 s7, v61, 63
	v_readlane_b32 s15, v61, 57
	;; [unrolled: 1-line block ×4, first 2 shown]
	s_mov_b64 s[20:21], 0
	s_mov_b64 s[22:23], 0
	s_and_saveexec_b64 s[12:13], vcc
	s_cbranch_execz .LBB7_114
; %bb.87:                               ;   in Loop: Header=BB7_15 Depth=1
	v_mov_b32_e32 v7, 0
	v_mov_b32_e32 v8, v40
                                        ; implicit-def: $sgpr20_sgpr21
                                        ; implicit-def: $sgpr18_sgpr19
                                        ; implicit-def: $sgpr16_sgpr17
                                        ; implicit-def: $sgpr14_sgpr15
                                        ; implicit-def: $sgpr28_sgpr29
                                        ; implicit-def: $sgpr24_sgpr25
                                        ; implicit-def: $sgpr26_sgpr27
                                        ; implicit-def: $sgpr30_sgpr31
                                        ; implicit-def: $sgpr34_sgpr35
	s_branch .LBB7_93
.LBB7_88:                               ;   in Loop: Header=BB7_93 Depth=2
	s_or_b64 exec, exec, s[52:53]
	s_andn2_b64 s[44:45], s[44:45], exec
	s_and_b64 s[50:51], s[50:51], exec
	s_or_b64 s[44:45], s[44:45], s[50:51]
	s_andn2_b64 s[40:41], s[40:41], exec
	s_orn2_b64 s[50:51], s[48:49], exec
.LBB7_89:                               ;   in Loop: Header=BB7_93 Depth=2
	s_or_b64 exec, exec, s[46:47]
	s_andn2_b64 s[6:7], s[6:7], exec
	s_and_b64 s[44:45], s[44:45], exec
	s_andn2_b64 s[4:5], s[4:5], exec
	s_and_b64 s[40:41], s[40:41], exec
	s_or_b64 s[6:7], s[6:7], s[44:45]
	s_or_b64 s[4:5], s[4:5], s[40:41]
	s_orn2_b64 s[40:41], s[50:51], exec
.LBB7_90:                               ;   in Loop: Header=BB7_93 Depth=2
	s_or_b64 exec, exec, s[42:43]
	s_and_b64 s[6:7], s[6:7], exec
	s_orn2_b64 s[42:43], s[4:5], exec
	s_orn2_b64 s[4:5], s[40:41], exec
.LBB7_91:                               ;   in Loop: Header=BB7_93 Depth=2
	s_or_b64 exec, exec, s[38:39]
	s_andn2_b64 s[34:35], s[34:35], exec
	s_and_b64 s[6:7], s[6:7], exec
	s_or_b64 s[34:35], s[34:35], s[6:7]
	s_andn2_b64 s[6:7], s[30:31], exec
	s_and_b64 s[30:31], s[42:43], exec
	s_or_b64 s[30:31], s[6:7], s[30:31]
	s_andn2_b64 s[6:7], s[28:29], exec
	s_and_b64 s[4:5], s[4:5], exec
	s_andn2_b64 s[26:27], s[26:27], exec
	s_or_b64 s[24:25], s[24:25], exec
	s_or_b64 s[28:29], s[6:7], s[4:5]
.LBB7_92:                               ;   in Loop: Header=BB7_93 Depth=2
	s_or_b64 exec, exec, s[36:37]
	s_xor_b64 s[4:5], s[34:35], -1
	s_xor_b64 s[6:7], s[30:31], -1
	s_and_b64 s[36:37], exec, s[28:29]
	s_or_b64 s[22:23], s[36:37], s[22:23]
	s_andn2_b64 s[14:15], s[14:15], exec
	s_and_b64 s[36:37], s[26:27], exec
	s_andn2_b64 s[18:19], s[18:19], exec
	s_and_b64 s[4:5], s[4:5], exec
	s_or_b64 s[14:15], s[14:15], s[36:37]
	s_andn2_b64 s[16:17], s[16:17], exec
	s_and_b64 s[36:37], s[24:25], exec
	s_or_b64 s[18:19], s[18:19], s[4:5]
	;; [unrolled: 3-line block ×3, first 2 shown]
	s_or_b64 s[20:21], s[4:5], s[6:7]
	s_andn2_b64 exec, exec, s[22:23]
	s_cbranch_execz .LBB7_111
.LBB7_93:                               ;   Parent Loop BB7_15 Depth=1
                                        ; =>  This Loop Header: Depth=2
                                        ;       Child Loop BB7_99 Depth 3
	v_lshl_add_u32 v0, v8, 3, v60
	buffer_load_dword v1, v0, s[0:3], 0 offen offset:8
	buffer_load_dword v2, v0, s[0:3], 0 offen offset:12
	s_andn2_b64 s[34:35], s[34:35], exec
	s_or_b64 s[30:31], s[30:31], exec
	s_or_b64 s[26:27], s[26:27], exec
	s_andn2_b64 s[24:25], s[24:25], exec
	s_or_b64 s[28:29], s[28:29], exec
	s_waitcnt vmcnt(1)
	v_lshrrev_b32_e32 v0, 1, v1
	s_waitcnt vmcnt(0)
	v_cmp_gt_i32_e32 vcc, v0, v2
	s_and_saveexec_b64 s[36:37], vcc
	s_cbranch_execz .LBB7_92
; %bb.94:                               ;   in Loop: Header=BB7_93 Depth=2
	v_ashrrev_i32_e32 v10, 1, v2
	v_lshrrev_b32_e32 v9, 2, v1
	v_max_i32_e32 v0, v9, v10
	v_cmp_lt_i32_e32 vcc, v0, v8
	s_mov_b64 s[4:5], -1
	s_mov_b64 s[6:7], 0
	s_mov_b64 s[42:43], -1
	s_and_saveexec_b64 s[38:39], vcc
	s_cbranch_execz .LBB7_91
; %bb.95:                               ;   in Loop: Header=BB7_93 Depth=2
	v_mov_b32_e32 v3, 0x820
	v_lshl_add_u32 v0, v10, 2, v3
	v_lshl_add_u32 v3, v9, 2, v3
	buffer_load_dword v4, v0, s[0:3], 0 offen
	s_nop 0
	buffer_load_dword v3, v3, s[0:3], 0 offen
	v_mov_b32_e32 v17, 0x820
	v_mov_b32_e32 v0, -1
	s_mov_b64 s[40:41], -1
	s_mov_b64 s[44:45], -1
	s_waitcnt vmcnt(1)
	v_cmp_ne_u32_e32 vcc, -1, v4
	s_waitcnt vmcnt(0)
	v_cmp_ne_u32_e64 s[4:5], -1, v3
	s_and_b64 s[46:47], vcc, s[4:5]
	s_mov_b64 s[4:5], -1
	s_and_saveexec_b64 s[42:43], s[46:47]
	s_cbranch_execz .LBB7_105
; %bb.96:                               ;   in Loop: Header=BB7_93 Depth=2
	v_and_b32_e32 v0, 1, v2
	v_bfe_u32 v1, v1, 1, 1
	v_lshl_or_b32 v0, v4, 1, v0
	v_lshl_or_b32 v2, v3, 1, v1
	v_min_i32_e32 v1, v0, v2
	v_max_i32_e32 v0, v0, v2
	v_lshrrev_b32_e32 v2, 1, v1
	v_xor_b32_e32 v2, v0, v2
	s_mov_b32 s4, 0xff51afd7
	s_mov_b32 s6, 0xed558ccd
	v_mul_lo_u32 v4, v2, s4
	v_mad_u64_u32 v[2:3], s[4:5], v2, s6, 0
	v_mul_lo_u32 v5, v1, s6
	v_readlane_b32 s50, v62, 10
	v_readlane_b32 s51, v62, 11
	v_cvt_f32_u32_e32 v11, s50
	v_add3_u32 v3, v3, v4, v5
	v_cvt_f32_u32_e32 v12, s51
	v_lshrrev_b32_e32 v4, 1, v3
	v_xor_b32_e32 v2, v4, v2
	s_mov_b32 s4, 0x1a85ec53
	s_mov_b32 s5, 0xc4ceb9fe
	v_mul_lo_u32 v4, v3, s4
	v_mul_lo_u32 v5, v2, s5
	v_mad_u64_u32 v[2:3], s[4:5], v2, s4, 0
	v_mac_f32_e32 v11, 0x4f800000, v12
	v_rcp_f32_e32 v11, v11
	v_add3_u32 v12, v3, v5, v4
	v_lshrrev_b32_e32 v3, 1, v12
	v_xor_b32_e32 v13, v3, v2
	v_mul_f32_e32 v2, 0x5f7ffffc, v11
	v_mul_f32_e32 v3, 0x2f800000, v2
	v_trunc_f32_e32 v3, v3
	v_mac_f32_e32 v2, 0xcf800000, v3
	v_cvt_u32_f32_e32 v2, v2
	v_cvt_u32_f32_e32 v3, v3
	s_sub_u32 s6, 0, s50
	s_subb_u32 s7, 0, s51
	v_readfirstlane_b32 s4, v2
	v_readfirstlane_b32 s44, v3
	s_mul_hi_u32 s33, s6, s4
	s_mul_i32 s45, s6, s44
	s_mul_i32 s5, s7, s4
	s_add_i32 s33, s33, s45
	s_add_i32 s33, s33, s5
	s_mul_i32 s46, s6, s4
	s_mul_i32 s45, s4, s33
	s_mul_hi_u32 s47, s4, s46
	s_mul_hi_u32 s5, s4, s33
	s_add_u32 s45, s47, s45
	s_addc_u32 s5, 0, s5
	s_mul_hi_u32 s48, s44, s46
	s_mul_i32 s46, s44, s46
	s_add_u32 s45, s45, s46
	s_mul_hi_u32 s47, s44, s33
	s_addc_u32 s5, s5, s48
	s_addc_u32 s45, s47, 0
	s_mul_i32 s33, s44, s33
	s_add_u32 s5, s5, s33
	s_addc_u32 s33, 0, s45
	s_add_u32 s45, s4, s5
	s_cselect_b64 s[4:5], -1, 0
	s_cmp_lg_u64 s[4:5], 0
	s_addc_u32 s33, s44, s33
	s_mul_i32 s4, s6, s33
	s_mul_hi_u32 s5, s6, s45
	s_add_i32 s4, s5, s4
	s_mul_i32 s7, s7, s45
	s_add_i32 s4, s4, s7
	s_mul_i32 s6, s6, s45
	s_mul_hi_u32 s7, s33, s6
	s_mul_i32 s44, s33, s6
	s_mul_i32 s47, s45, s4
	s_mul_hi_u32 s6, s45, s6
	s_mul_hi_u32 s46, s45, s4
	s_add_u32 s6, s6, s47
	s_addc_u32 s46, 0, s46
	s_add_u32 s6, s6, s44
	s_mul_hi_u32 s5, s33, s4
	s_addc_u32 s6, s46, s7
	s_addc_u32 s5, s5, 0
	s_mul_i32 s4, s33, s4
	s_add_u32 s4, s6, s4
	s_addc_u32 s6, 0, s5
	s_add_u32 s7, s45, s4
	s_cselect_b64 s[4:5], -1, 0
	s_cmp_lg_u64 s[4:5], 0
	s_addc_u32 s6, s33, s6
	v_mad_u64_u32 v[2:3], s[4:5], v13, s6, 0
	v_mul_hi_u32 v4, v13, s7
	v_add_co_u32_e32 v11, vcc, v4, v2
	v_addc_co_u32_e32 v14, vcc, 0, v3, vcc
	v_mad_u64_u32 v[2:3], s[4:5], v12, s7, 0
	v_mad_u64_u32 v[4:5], s[4:5], v12, s6, 0
	v_add_co_u32_e32 v2, vcc, v11, v2
	v_addc_co_u32_e32 v2, vcc, v14, v3, vcc
	v_addc_co_u32_e32 v3, vcc, 0, v5, vcc
	v_add_co_u32_e32 v2, vcc, v2, v4
	v_addc_co_u32_e32 v3, vcc, 0, v3, vcc
	v_mul_lo_u32 v4, s51, v2
	v_mul_lo_u32 v5, s50, v3
	v_mad_u64_u32 v[2:3], s[4:5], s50, v2, 0
	v_add3_u32 v3, v3, v5, v4
	v_sub_u32_e32 v4, v12, v3
	v_mov_b32_e32 v5, s51
	v_sub_co_u32_e32 v2, vcc, v13, v2
	v_subb_co_u32_e64 v4, s[4:5], v4, v5, vcc
	v_subrev_co_u32_e64 v11, s[4:5], s50, v2
	v_subbrev_co_u32_e64 v13, s[6:7], 0, v4, s[4:5]
	v_cmp_le_u32_e64 s[6:7], s51, v13
	v_cndmask_b32_e64 v14, 0, -1, s[6:7]
	v_cmp_le_u32_e64 s[6:7], s50, v11
	v_subb_co_u32_e64 v4, s[4:5], v4, v5, s[4:5]
	v_cndmask_b32_e64 v15, 0, -1, s[6:7]
	v_cmp_eq_u32_e64 s[6:7], s51, v13
	v_subrev_co_u32_e64 v5, s[4:5], s50, v11
	v_subb_co_u32_e32 v3, vcc, v12, v3, vcc
	v_cndmask_b32_e64 v14, v14, v15, s[6:7]
	v_subbrev_co_u32_e64 v4, s[4:5], 0, v4, s[4:5]
	v_cmp_le_u32_e32 vcc, s51, v3
	v_cmp_ne_u32_e64 s[4:5], 0, v14
	v_cndmask_b32_e64 v12, 0, -1, vcc
	v_cmp_le_u32_e32 vcc, s50, v2
	v_cndmask_b32_e64 v4, v13, v4, s[4:5]
	v_cndmask_b32_e64 v13, 0, -1, vcc
	v_cmp_eq_u32_e32 vcc, s51, v3
	v_cndmask_b32_e32 v12, v12, v13, vcc
	v_cmp_ne_u32_e32 vcc, 0, v12
	v_cndmask_b32_e32 v3, v3, v4, vcc
	v_cndmask_b32_e64 v4, v11, v5, s[4:5]
	v_cndmask_b32_e32 v2, v2, v4, vcc
	v_lshlrev_b64 v[4:5], 3, v[2:3]
	v_readlane_b32 s4, v62, 6
	v_readlane_b32 s5, v62, 7
	v_mov_b32_e32 v11, s5
	v_add_co_u32_e32 v4, vcc, s4, v4
	v_addc_co_u32_e32 v5, vcc, v11, v5, vcc
	global_load_dwordx2 v[4:5], v[4:5], off
	v_readlane_b32 s6, v62, 8
	v_readlane_b32 s7, v62, 9
	s_mov_b64 s[6:7], -1
	s_waitcnt vmcnt(0)
	v_cmp_ne_u64_e32 vcc, v[4:5], v[0:1]
	s_and_saveexec_b64 s[4:5], vcc
	s_cbranch_execz .LBB7_102
; %bb.97:                               ;   in Loop: Header=BB7_93 Depth=2
	s_mov_b64 s[6:7], 0
                                        ; implicit-def: $sgpr44_sgpr45
                                        ; implicit-def: $sgpr48_sgpr49
                                        ; implicit-def: $sgpr46_sgpr47
	s_branch .LBB7_99
.LBB7_98:                               ;   in Loop: Header=BB7_99 Depth=3
	s_or_b64 exec, exec, s[50:51]
	s_xor_b64 s[50:51], s[46:47], -1
	s_and_b64 s[52:53], exec, s[48:49]
	s_or_b64 s[6:7], s[52:53], s[6:7]
	s_andn2_b64 s[44:45], s[44:45], exec
	s_and_b64 s[50:51], s[50:51], exec
	s_or_b64 s[44:45], s[44:45], s[50:51]
	s_andn2_b64 exec, exec, s[6:7]
	s_cbranch_execz .LBB7_101
.LBB7_99:                               ;   Parent Loop BB7_15 Depth=1
                                        ;     Parent Loop BB7_93 Depth=2
                                        ; =>    This Inner Loop Header: Depth=3
	v_cmp_ne_u64_e32 vcc, -1, v[4:5]
	s_or_b64 s[46:47], s[46:47], exec
	s_or_b64 s[48:49], s[48:49], exec
                                        ; implicit-def: $vgpr4_vgpr5
	s_and_saveexec_b64 s[50:51], vcc
	s_cbranch_execz .LBB7_98
; %bb.100:                              ;   in Loop: Header=BB7_99 Depth=3
	v_add_co_u32_e32 v2, vcc, 1, v2
	v_readlane_b32 s52, v62, 10
	v_addc_co_u32_e32 v3, vcc, 0, v3, vcc
	v_readlane_b32 s53, v62, 11
	v_cmp_ne_u64_e32 vcc, s[52:53], v[2:3]
	v_readlane_b32 s52, v62, 6
	v_cndmask_b32_e32 v3, 0, v3, vcc
	v_cndmask_b32_e32 v2, 0, v2, vcc
	v_lshlrev_b64 v[4:5], 3, v[2:3]
	v_readlane_b32 s53, v62, 7
	v_mov_b32_e32 v11, s53
	v_add_co_u32_e32 v4, vcc, s52, v4
	v_addc_co_u32_e32 v5, vcc, v11, v5, vcc
	global_load_dwordx2 v[4:5], v[4:5], off
	s_andn2_b64 s[48:49], s[48:49], exec
	s_andn2_b64 s[46:47], s[46:47], exec
	v_readlane_b32 s54, v62, 8
	v_readlane_b32 s55, v62, 9
	s_waitcnt vmcnt(0)
	v_cmp_eq_u64_e32 vcc, v[4:5], v[0:1]
	s_and_b64 s[52:53], vcc, exec
	s_or_b64 s[48:49], s[48:49], s[52:53]
	s_branch .LBB7_98
.LBB7_101:                              ;   in Loop: Header=BB7_93 Depth=2
	s_or_b64 exec, exec, s[6:7]
	s_orn2_b64 s[6:7], s[44:45], exec
.LBB7_102:                              ;   in Loop: Header=BB7_93 Depth=2
	s_or_b64 exec, exec, s[4:5]
	v_mov_b32_e32 v0, -1
	s_and_saveexec_b64 s[4:5], s[6:7]
	s_cbranch_execz .LBB7_104
; %bb.103:                              ;   in Loop: Header=BB7_93 Depth=2
	v_lshlrev_b64 v[0:1], 2, v[2:3]
	v_readlane_b32 s44, v62, 6
	v_readlane_b32 s46, v62, 8
	;; [unrolled: 1-line block ×3, first 2 shown]
	v_mov_b32_e32 v2, s47
	v_add_co_u32_e32 v0, vcc, s46, v0
	v_addc_co_u32_e32 v1, vcc, v2, v1, vcc
	global_load_dword v0, v[0:1], off
	v_readlane_b32 s45, v62, 7
.LBB7_104:                              ;   in Loop: Header=BB7_93 Depth=2
	s_or_b64 exec, exec, s[4:5]
	s_mov_b32 s4, 0x281c00
	buffer_load_dword v1, off, s[0:3], s4   ; 4-byte Folded Reload
	buffer_load_dword v2, off, s[0:3], s4 offset:4 ; 4-byte Folded Reload
	s_xor_b64 s[4:5], exec, -1
	s_mov_b64 s[6:7], exec
	s_waitcnt vmcnt(1)
	v_cmp_ne_u32_e32 vcc, v0, v1
	s_orn2_b64 s[44:45], vcc, exec
.LBB7_105:                              ;   in Loop: Header=BB7_93 Depth=2
	s_or_b64 exec, exec, s[42:43]
	s_and_saveexec_b64 s[42:43], s[44:45]
	s_cbranch_execz .LBB7_90
; %bb.106:                              ;   in Loop: Header=BB7_93 Depth=2
	v_cmp_ne_u32_e64 s[48:49], -1, v0
	v_cmp_eq_u32_e32 vcc, -1, v0
	s_mov_b64 s[40:41], s[4:5]
	s_mov_b64 s[44:45], s[6:7]
	s_and_saveexec_b64 s[46:47], vcc
; %bb.107:                              ;   in Loop: Header=BB7_93 Depth=2
	v_cmp_lt_i32_e32 vcc, v7, v58
	v_add_u32_e32 v1, 1, v7
	s_andn2_b64 s[48:49], s[48:49], exec
	s_and_b64 s[50:51], vcc, exec
	s_or_b64 s[44:45], s[6:7], exec
	s_andn2_b64 s[40:41], s[4:5], exec
	s_or_b64 s[48:49], s[48:49], s[50:51]
	v_mov_b32_e32 v7, v1
; %bb.108:                              ;   in Loop: Header=BB7_93 Depth=2
	s_or_b64 exec, exec, s[46:47]
	s_mov_b64 s[50:51], -1
	s_and_saveexec_b64 s[46:47], s[48:49]
	s_cbranch_execz .LBB7_89
; %bb.109:                              ;   in Loop: Header=BB7_93 Depth=2
	v_mov_b32_e32 v3, 0xc20
	v_lshl_add_u32 v1, v10, 2, v3
	s_waitcnt vmcnt(0)
	v_lshl_add_u32 v2, v9, 2, v3
	buffer_load_dword v1, v1, s[0:3], 0 offen
	s_mov_b32 s33, 0x3b9aca00
	buffer_load_dword v2, v2, s[0:3], 0 offen
	v_lshl_add_u32 v3, v8, 2, v3
	s_mov_b64 s[48:49], -1
	s_waitcnt vmcnt(0)
	v_max_i32_e32 v1, v1, v2
	v_add_u32_e32 v2, 1, v1
	v_cmp_gt_i32_e32 vcc, s33, v1
	buffer_store_dword v2, v3, s[0:3], 0 offen
	s_and_saveexec_b64 s[52:53], vcc
	s_cbranch_execz .LBB7_88
; %bb.110:                              ;   in Loop: Header=BB7_93 Depth=2
	v_lshl_add_u32 v1, v8, 2, v17
	v_add_u32_e32 v8, 1, v8
	v_cmp_ge_i32_e32 vcc, v8, v6
	s_xor_b64 s[50:51], exec, -1
	s_orn2_b64 s[48:49], vcc, exec
	buffer_store_dword v0, v1, s[0:3], 0 offen
	s_branch .LBB7_88
.LBB7_111:                              ;   in Loop: Header=BB7_15 Depth=1
	s_or_b64 exec, exec, s[22:23]
	s_mov_b64 s[24:25], 0
	v_mov_b32_e32 v0, 0
	s_mov_b64 s[4:5], 0
	s_and_saveexec_b64 s[6:7], s[20:21]
	s_xor_b64 s[6:7], exec, s[6:7]
; %bb.112:                              ;   in Loop: Header=BB7_15 Depth=1
	s_and_b64 s[24:25], s[18:19], exec
	s_mov_b64 s[4:5], exec
	v_mov_b32_e32 v0, v7
; %bb.113:                              ;   in Loop: Header=BB7_15 Depth=1
	s_or_b64 exec, exec, s[6:7]
	v_readlane_b32 s6, v61, 60
	v_readlane_b32 s7, v61, 61
	s_andn2_b64 s[18:19], s[6:7], exec
	v_readlane_b32 s6, v61, 58
	v_readlane_b32 s7, v61, 59
	s_and_b64 s[22:23], s[16:17], exec
	s_andn2_b64 s[16:17], s[6:7], exec
	v_readlane_b32 s6, v61, 56
	v_readlane_b32 s7, v61, 57
	s_and_b64 s[20:21], s[14:15], exec
	s_andn2_b64 s[14:15], s[6:7], exec
	v_readlane_b32 s6, v61, 62
	v_readlane_b32 s7, v61, 63
	s_andn2_b64 s[6:7], s[6:7], exec
	s_and_b64 s[4:5], s[4:5], exec
	s_orn2_b64 s[24:25], s[24:25], exec
.LBB7_114:                              ;   in Loop: Header=BB7_15 Depth=1
	s_or_b64 exec, exec, s[12:13]
	v_mov_b32_e32 v4, -1
	s_and_saveexec_b64 s[12:13], s[24:25]
	s_cbranch_execz .LBB7_116
; %bb.115:                              ;   in Loop: Header=BB7_15 Depth=1
	v_lshlrev_b32_e32 v1, 2, v6
	s_movk_i32 s24, 0xc20
	v_add3_u32 v1, s24, v1, -4
	buffer_load_dword v1, v1, s[0:3], 0 offen
	s_mov_b32 s24, 0x282800
	s_or_b64 s[4:5], s[4:5], exec
	v_mov_b32_e32 v4, v0
	s_waitcnt vmcnt(0)
	buffer_store_dword v1, off, s[0:3], s24 ; 4-byte Folded Spill
.LBB7_116:                              ;   in Loop: Header=BB7_15 Depth=1
	s_or_b64 exec, exec, s[12:13]
	s_and_b64 s[12:13], s[22:23], exec
	v_writelane_b32 v63, s12, 8
	v_writelane_b32 v63, s13, 9
	v_readlane_b32 s12, v61, 60
	v_readlane_b32 s13, v61, 61
	s_andn2_b64 s[12:13], s[12:13], exec
	s_and_b64 s[18:19], s[18:19], exec
	s_or_b64 s[12:13], s[12:13], s[18:19]
	v_writelane_b32 v63, s12, 6
	v_writelane_b32 v63, s13, 7
	v_readlane_b32 s12, v61, 58
	v_readlane_b32 s13, v61, 59
	s_andn2_b64 s[12:13], s[12:13], exec
	s_and_b64 s[16:17], s[16:17], exec
	s_or_b64 s[12:13], s[12:13], s[16:17]
	;; [unrolled: 7-line block ×3, first 2 shown]
	v_readlane_b32 s50, v61, 62
	v_writelane_b32 v63, s12, 2
	v_readlane_b32 s51, v61, 63
	v_writelane_b32 v63, s13, 3
	s_andn2_b64 s[12:13], s[50:51], exec
	s_and_b64 s[6:7], s[6:7], exec
	s_or_b64 s[52:53], s[12:13], s[6:7]
	s_andn2_b64 s[6:7], s[8:9], exec
	s_and_b64 s[4:5], s[4:5], exec
	s_and_b64 s[44:45], s[20:21], exec
	s_or_b64 s[8:9], s[6:7], s[4:5]
.LBB7_117:                              ;   in Loop: Header=BB7_15 Depth=1
	s_or_b64 exec, exec, s[10:11]
	s_mov_b64 s[6:7], -1
	s_mov_b64 s[4:5], 0
	s_mov_b64 s[10:11], 0
	;; [unrolled: 1-line block ×17, first 2 shown]
	s_mov_b64 s[46:47], exec
	v_writelane_b32 v63, s46, 10
	v_writelane_b32 v63, s47, 11
	s_and_b64 s[8:9], s[46:47], s[8:9]
	s_mov_b64 exec, s[8:9]
	s_cbranch_execz .LBB7_8
; %bb.118:                              ;   in Loop: Header=BB7_15 Depth=1
	v_writelane_b32 v63, s52, 12
	v_writelane_b32 v63, s53, 13
	v_cmp_lt_i32_e32 vcc, 0, v45
	s_and_saveexec_b64 s[4:5], vcc
	s_cbranch_execz .LBB7_121
; %bb.119:                              ;   in Loop: Header=BB7_15 Depth=1
	s_mov_b32 s6, 0x282100
	buffer_load_dword v5, off, s[0:3], s6   ; 4-byte Folded Reload
	buffer_load_dword v6, off, s[0:3], s6 offset:4 ; 4-byte Folded Reload
	s_waitcnt vmcnt(5)
	v_add_u32_e32 v15, -1, v45
	s_waitcnt vmcnt(4)
	v_lshlrev_b64 v[0:1], 2, v[15:16]
	v_readlane_b32 s8, v62, 26
	v_readlane_b32 s10, v62, 28
	;; [unrolled: 1-line block ×3, first 2 shown]
	v_mov_b32_e32 v3, s11
	s_waitcnt vmcnt(2)
	v_add_u32_e32 v2, 1, v45
	s_mov_b64 s[6:7], 0
	v_readlane_b32 s9, v62, 27
	s_waitcnt vmcnt(1)
	v_add_co_u32_e32 v0, vcc, v5, v0
	s_waitcnt vmcnt(0)
	v_addc_co_u32_e32 v1, vcc, v6, v1, vcc
	v_add_co_u32_e32 v0, vcc, s10, v0
	v_addc_co_u32_e32 v1, vcc, v3, v1, vcc
.LBB7_120:                              ;   Parent Loop BB7_15 Depth=1
                                        ; =>  This Inner Loop Header: Depth=2
	global_load_dword v3, v[0:1], off
	v_add_u32_e32 v2, -1, v2
	v_cmp_gt_u32_e32 vcc, 2, v2
	s_or_b64 s[6:7], vcc, s[6:7]
	s_waitcnt vmcnt(0)
	v_not_b32_e32 v3, v3
	global_store_dword v[0:1], v3, off
	v_add_co_u32_e32 v0, vcc, -4, v0
	v_addc_co_u32_e32 v1, vcc, -1, v1, vcc
	s_andn2_b64 exec, exec, s[6:7]
	s_cbranch_execnz .LBB7_120
.LBB7_121:                              ;   in Loop: Header=BB7_15 Depth=1
	v_writelane_b32 v63, s44, 14
	v_writelane_b32 v63, s45, 15
	s_or_b64 exec, exec, s[4:5]
	buffer_load_dword v0, v43, s[0:3], 0 offen offset:44
	s_mov_b64 s[6:7], -1
	s_mov_b64 s[4:5], 0
	s_mov_b64 s[8:9], -1
	s_mov_b64 s[10:11], 0
	s_mov_b64 s[12:13], 0
	;; [unrolled: 1-line block ×15, first 2 shown]
	s_waitcnt vmcnt(0)
	v_cmp_lt_i32_e32 vcc, -1, v0
	s_mov_b64 s[40:41], exec
	v_writelane_b32 v63, s40, 16
	v_writelane_b32 v63, s41, 17
	s_and_b64 s[40:41], s[40:41], vcc
	s_mov_b64 exec, s[40:41]
	s_cbranch_execz .LBB7_7
; %bb.122:                              ;   in Loop: Header=BB7_15 Depth=1
	s_mov_b32 s4, 0x282100
	s_add_u32 s8, s88, 0x80
	v_readlane_b32 s6, v62, 4
	buffer_store_dword v4, off, s[0:3], s4  ; 4-byte Folded Spill
	s_mov_b32 s4, 0x282400
	s_addc_u32 s9, s89, 0
	v_mov_b32_e32 v0, v41
	v_mov_b32_e32 v1, v42
	v_readlane_b32 s7, v62, 5
	buffer_store_dword v18, off, s[0:3], s4 ; 4-byte Folded Spill
	s_nop 0
	buffer_store_dword v19, off, s[0:3], s4 offset:4 ; 4-byte Folded Spill
	buffer_store_dword v16, v43, s[0:3], 0 offen offset:44
	s_getpc_b64 s[4:5]
	s_add_u32 s4, s4, _ZN3sop13minatoIsopRecEPKjS1_iPNS_3SopEP7VecsMemIjLi8192EE@rel32@lo+4
	s_addc_u32 s5, s5, _ZN3sop13minatoIsopRecEPKjS1_iPNS_3SopEP7VecsMemIjLi8192EE@rel32@hi+12
	v_mov_b32_e32 v2, v41
	v_mov_b32_e32 v3, v42
	;; [unrolled: 1-line block ×7, first 2 shown]
	s_or_saveexec_b64 s[100:101], -1
	s_mov_b32 s6, 0x282300
	buffer_store_dword v63, off, s[0:3], s6 ; 4-byte Folded Spill
	s_mov_b64 exec, s[100:101]
	v_mov_b32_e32 v47, v16
	s_swappc_b64 s[30:31], s[4:5]
	v_mov_b32_e32 v16, v47
	s_or_saveexec_b64 s[100:101], -1
	s_mov_b32 s4, 0x282300
	buffer_load_dword v63, off, s[0:3], s4  ; 4-byte Folded Reload
	s_mov_b64 exec, s[100:101]
	s_mov_b64 s[4:5], 0
	v_mov_b32_e32 v15, v45
                                        ; implicit-def: $sgpr18_sgpr19
                                        ; implicit-def: $sgpr8_sgpr9
                                        ; implicit-def: $sgpr6_sgpr7
	s_branch .LBB7_124
.LBB7_123:                              ;   in Loop: Header=BB7_124 Depth=2
	s_or_b64 exec, exec, s[10:11]
	s_and_b64 s[10:11], exec, s[8:9]
	s_or_b64 s[4:5], s[10:11], s[4:5]
	s_andn2_b64 s[10:11], s[18:19], exec
	s_and_b64 s[12:13], s[6:7], exec
	s_or_b64 s[18:19], s[10:11], s[12:13]
	s_andn2_b64 exec, exec, s[4:5]
	s_cbranch_execz .LBB7_126
.LBB7_124:                              ;   Parent Loop BB7_15 Depth=1
                                        ; =>  This Inner Loop Header: Depth=2
	v_cmp_lt_i32_e32 vcc, 0, v15
	s_or_b64 s[6:7], s[6:7], exec
	s_or_b64 s[8:9], s[8:9], exec
	s_and_saveexec_b64 s[10:11], vcc
	s_cbranch_execz .LBB7_123
; %bb.125:                              ;   in Loop: Header=BB7_124 Depth=2
	v_add_u32_e32 v15, -1, v15
	v_lshlrev_b64 v[2:3], 2, v[15:16]
	s_andn2_b64 s[8:9], s[8:9], exec
	v_add_co_u32_e32 v4, vcc, v41, v2
	v_addc_co_u32_e32 v5, vcc, v42, v3, vcc
	v_add_co_u32_e32 v2, vcc, v0, v2
	v_addc_co_u32_e32 v3, vcc, v1, v3, vcc
	global_load_dword v4, v[4:5], off
	s_andn2_b64 s[6:7], s[6:7], exec
	flat_load_dword v2, v[2:3]
	s_waitcnt vmcnt(0) lgkmcnt(0)
	v_cmp_ne_u32_e32 vcc, v4, v2
	s_and_b64 s[12:13], vcc, exec
	s_or_b64 s[8:9], s[8:9], s[12:13]
	s_branch .LBB7_123
.LBB7_126:                              ;   in Loop: Header=BB7_15 Depth=1
	s_or_b64 exec, exec, s[4:5]
	s_mov_b64 s[4:5], 0
	s_mov_b64 s[6:7], -1
	s_mov_b64 s[8:9], 0
	s_mov_b64 s[10:11], 0
	s_mov_b64 s[12:13], 0
	s_mov_b64 s[14:15], 0
	s_mov_b64 s[16:17], 0
	s_mov_b64 s[20:21], 0
	s_mov_b64 s[22:23], 0
	s_mov_b64 s[24:25], 0
	s_mov_b64 s[26:27], 0
	s_mov_b64 s[28:29], 0
	s_mov_b64 s[40:41], 0
	s_mov_b64 s[42:43], 0
	s_mov_b64 s[46:47], 0
	s_mov_b64 s[48:49], 0
	s_mov_b64 s[44:45], -1
	s_mov_b64 s[30:31], exec
	s_and_b64 s[18:19], s[30:31], s[18:19]
	s_xor_b64 s[30:31], s[18:19], s[30:31]
	s_waitcnt vmcnt(0)
	v_writelane_b32 v63, s30, 18
	v_writelane_b32 v63, s31, 19
	s_or_saveexec_b64 s[100:101], -1
	s_mov_b32 s30, 0x282000
	s_nop 1
	buffer_load_dword v62, off, s[0:3], s30 ; 4-byte Folded Reload
	s_mov_b64 exec, s[100:101]
	s_waitcnt vmcnt(0)
	v_readlane_b32 s88, v62, 40
	v_readlane_b32 s90, v61, 40
	v_readlane_b32 s89, v62, 41
	v_readlane_b32 s91, v61, 41
	s_mov_b64 exec, s[18:19]
	s_cbranch_execz .LBB7_6
; %bb.127:                              ;   in Loop: Header=BB7_15 Depth=1
	buffer_load_dword v2, off, s[0:3], 0 offset:2068
	s_waitcnt vmcnt(0)
	v_cmp_lt_i32_e32 vcc, 0, v2
	s_mov_b64 s[6:7], exec
	s_mov_b32 s12, 0x282400
	buffer_load_dword v7, off, s[0:3], s12  ; 4-byte Folded Reload
	buffer_load_dword v8, off, s[0:3], s12 offset:4 ; 4-byte Folded Reload
	s_and_b64 s[8:9], s[6:7], vcc
	s_xor_b64 s[6:7], s[8:9], s[6:7]
	s_mov_b64 exec, s[8:9]
	s_cbranch_execz .LBB7_131
; %bb.128:                              ;   in Loop: Header=BB7_15 Depth=1
	v_cmp_eq_u32_e32 vcc, 1, v2
	s_mov_b64 s[10:11], -1
	s_mov_b64 s[12:13], 0
	s_and_saveexec_b64 s[8:9], vcc
	s_cbranch_execz .LBB7_130
; %bb.129:                              ;   in Loop: Header=BB7_15 Depth=1
	buffer_load_dword v0, off, s[0:3], 0 offset:2072
	buffer_load_dword v1, off, s[0:3], 0 offset:2076
	s_waitcnt vmcnt(0)
	flat_load_dword v0, v[0:1]
	s_waitcnt vmcnt(0) lgkmcnt(0)
	v_cmp_eq_u32_e32 vcc, 0, v0
	v_cmp_ne_u32_e64 s[4:5], 0, v0
	s_and_b64 s[12:13], vcc, exec
	s_orn2_b64 s[10:11], s[4:5], exec
.LBB7_130:                              ;   in Loop: Header=BB7_15 Depth=1
	s_or_b64 exec, exec, s[8:9]
	s_and_b64 s[4:5], s[12:13], exec
	s_and_b64 s[10:11], s[10:11], exec
.LBB7_131:                              ;   in Loop: Header=BB7_15 Depth=1
	s_andn2_saveexec_b64 s[6:7], s[6:7]
; %bb.132:                              ;   in Loop: Header=BB7_15 Depth=1
	v_cmp_ne_u32_e32 vcc, 0, v2
	s_andn2_b64 s[8:9], s[10:11], exec
	s_and_b64 s[10:11], vcc, exec
	s_or_b64 s[4:5], s[4:5], exec
	s_or_b64 s[10:11], s[8:9], s[10:11]
; %bb.133:                              ;   in Loop: Header=BB7_15 Depth=1
	s_or_b64 exec, exec, s[6:7]
	s_mov_b64 s[6:7], 0
	v_writelane_b32 v63, s6, 24
	v_writelane_b32 v63, s7, 25
	s_mov_b64 s[6:7], -1
	v_writelane_b32 v63, s6, 20
	v_writelane_b32 v63, s7, 21
	s_mov_b64 s[6:7], 0
	v_writelane_b32 v63, s6, 22
	s_mov_b64 s[8:9], 0
	v_writelane_b32 v63, s7, 23
	s_and_saveexec_b64 s[6:7], s[10:11]
	s_cbranch_execz .LBB7_148
; %bb.134:                              ;   in Loop: Header=BB7_15 Depth=1
	v_cmp_lt_i32_e32 vcc, 0, v2
	v_mov_b32_e32 v3, -1
	s_mov_b64 s[16:17], -1
	s_mov_b64 s[10:11], -1
	s_and_saveexec_b64 s[12:13], vcc
	s_cbranch_execz .LBB7_138
; %bb.135:                              ;   in Loop: Header=BB7_15 Depth=1
	buffer_load_dword v0, v43, s[0:3], 0 offen offset:44
	s_movk_i32 s10, 0x2001
	v_mov_b32_e32 v3, -1
	s_waitcnt vmcnt(0)
	v_add_u32_e32 v1, v0, v2
	v_cmp_gt_i32_e32 vcc, s10, v1
	s_and_saveexec_b64 s[10:11], vcc
	s_cbranch_execz .LBB7_137
; %bb.136:                              ;   in Loop: Header=BB7_15 Depth=1
	v_lshlrev_b32_e32 v0, 2, v0
	s_movk_i32 s16, 0x1050
	s_mov_b64 s[8:9], exec
	v_add3_u32 v3, s16, v0, 4
	buffer_store_dword v1, v43, s[0:3], 0 offen offset:44
.LBB7_137:                              ;   in Loop: Header=BB7_15 Depth=1
	s_or_b64 exec, exec, s[10:11]
	s_xor_b64 s[10:11], exec, -1
	s_orn2_b64 s[16:17], s[8:9], exec
	s_mov_b64 s[8:9], exec
.LBB7_138:                              ;   in Loop: Header=BB7_15 Depth=1
	s_or_b64 exec, exec, s[12:13]
	s_mov_b64 s[18:19], 0
	s_and_saveexec_b64 s[12:13], s[16:17]
	s_cbranch_execz .LBB7_147
; %bb.139:                              ;   in Loop: Header=BB7_15 Depth=1
	v_cmp_ne_u32_e32 vcc, -1, v3
	s_mov_b64 s[18:19], -1
	s_mov_b64 s[16:17], 0
	s_and_saveexec_b64 s[14:15], vcc
	s_cbranch_execz .LBB7_146
; %bb.140:                              ;   in Loop: Header=BB7_15 Depth=1
	v_cmp_lt_i32_e32 vcc, 0, v2
	s_and_saveexec_b64 s[16:17], vcc
	s_cbranch_execz .LBB7_145
; %bb.141:                              ;   in Loop: Header=BB7_15 Depth=1
	buffer_load_dword v0, off, s[0:3], 0 offset:2072
	buffer_load_dword v1, off, s[0:3], 0 offset:2076
	s_mov_b64 s[18:19], 0
	v_mov_b32_e32 v4, v2
	v_mov_b32_e32 v5, v3
.LBB7_142:                              ;   Parent Loop BB7_15 Depth=1
                                        ; =>  This Inner Loop Header: Depth=2
	s_waitcnt vmcnt(0)
	flat_load_dword v6, v[0:1]
	v_add_co_u32_e32 v0, vcc, 4, v0
	v_add_u32_e32 v4, -1, v4
	v_addc_co_u32_e32 v1, vcc, 0, v1, vcc
	v_cmp_eq_u32_e32 vcc, 0, v4
	s_or_b64 s[18:19], vcc, s[18:19]
	s_waitcnt vmcnt(0) lgkmcnt(0)
	buffer_store_dword v6, v5, s[0:3], 0 offen
	v_add_u32_e32 v5, 4, v5
	s_andn2_b64 exec, exec, s[18:19]
	s_cbranch_execnz .LBB7_142
; %bb.143:                              ;   in Loop: Header=BB7_15 Depth=1
	s_or_b64 exec, exec, s[18:19]
	s_mov_b64 s[18:19], 0
	v_mov_b32_e32 v0, v2
	v_readlane_b32 s20, v62, 13
.LBB7_144:                              ;   Parent Loop BB7_15 Depth=1
                                        ; =>  This Inner Loop Header: Depth=2
	buffer_load_dword v1, v3, s[0:3], 0 offen
	v_add_u32_e32 v0, -1, v0
	v_mov_b32_e32 v4, s20
	s_add_i32 s20, s20, 4
	v_cmp_eq_u32_e32 vcc, 0, v0
	v_add_u32_e32 v3, 4, v3
	s_or_b64 s[18:19], vcc, s[18:19]
	s_waitcnt vmcnt(0)
	buffer_store_dword v1, v4, s[0:3], 0 offen
	s_andn2_b64 exec, exec, s[18:19]
	s_cbranch_execnz .LBB7_144
.LBB7_145:                              ;   in Loop: Header=BB7_15 Depth=1
	s_or_b64 exec, exec, s[16:17]
	buffer_load_dword v0, v43, s[0:3], 0 offen offset:44
	s_xor_b64 s[18:19], exec, -1
	s_mov_b64 s[20:21], exec
	s_waitcnt vmcnt(0)
	v_cmp_ge_i32_e32 vcc, v0, v2
	s_and_b64 s[16:17], vcc, exec
.LBB7_146:                              ;   in Loop: Header=BB7_15 Depth=1
	s_or_b64 exec, exec, s[14:15]
	s_andn2_b64 s[10:11], s[10:11], exec
	s_and_b64 s[20:21], s[20:21], exec
	s_and_b64 s[18:19], s[18:19], exec
	s_andn2_b64 s[8:9], s[8:9], exec
	s_and_b64 s[14:15], s[16:17], exec
.LBB7_147:                              ;   in Loop: Header=BB7_15 Depth=1
	s_or_b64 exec, exec, s[12:13]
	s_orn2_b64 s[10:11], s[10:11], exec
	v_writelane_b32 v63, s10, 20
	v_writelane_b32 v63, s11, 21
	s_and_b64 s[10:11], s[20:21], exec
	v_writelane_b32 v63, s10, 22
	v_writelane_b32 v63, s11, 23
	s_and_b64 s[10:11], s[18:19], exec
	s_and_b64 s[16:17], s[8:9], exec
	;; [unrolled: 1-line block ×3, first 2 shown]
	s_mov_b64 s[14:15], s[10:11]
	s_andn2_b64 s[4:5], s[4:5], exec
.LBB7_148:                              ;   in Loop: Header=BB7_15 Depth=1
	s_or_b64 exec, exec, s[6:7]
	s_and_saveexec_b64 s[6:7], s[4:5]
	s_cbranch_execz .LBB7_150
; %bb.149:                              ;   in Loop: Header=BB7_15 Depth=1
	buffer_load_dword v0, v43, s[0:3], 0 offen offset:44
	v_readlane_b32 s4, v63, 20
	v_readlane_b32 s5, v63, 21
	s_andn2_b64 s[4:5], s[4:5], exec
	v_writelane_b32 v63, s4, 20
	v_writelane_b32 v63, s5, 21
	v_readlane_b32 s4, v63, 22
	v_readlane_b32 s5, v63, 23
	s_andn2_b64 s[4:5], s[4:5], exec
	v_writelane_b32 v63, s4, 22
	v_writelane_b32 v63, s5, 23
	s_andn2_b64 s[4:5], s[8:9], exec
	s_andn2_b64 s[14:15], s[14:15], exec
	;; [unrolled: 1-line block ×3, first 2 shown]
	buffer_store_dword v16, v43, s[0:3], 0 offen offset:48
	s_waitcnt vmcnt(1)
	v_cmp_ge_i32_e32 vcc, v0, v2
	s_and_b64 s[8:9], vcc, exec
	s_or_b64 s[8:9], s[4:5], s[8:9]
	s_mov_b64 s[4:5], exec
	v_writelane_b32 v63, s4, 24
	v_writelane_b32 v63, s5, 25
.LBB7_150:                              ;   in Loop: Header=BB7_15 Depth=1
	s_or_b64 exec, exec, s[6:7]
	s_mov_b64 s[6:7], -1
	s_mov_b64 s[4:5], 0
	s_mov_b64 s[18:19], 0
	;; [unrolled: 1-line block ×11, first 2 shown]
	s_mov_b64 s[10:11], exec
	v_writelane_b32 v63, s10, 26
	v_writelane_b32 v63, s11, 27
	s_and_b64 s[8:9], s[10:11], s[8:9]
	s_mov_b64 exec, s[8:9]
	s_cbranch_execz .LBB7_5
; %bb.151:                              ;   in Loop: Header=BB7_15 Depth=1
	v_mov_b32_e32 v0, 0x9058
	v_cmp_lt_i32_e32 vcc, 0, v2
	s_mov_b64 s[98:99], 0
	buffer_store_dword v2, v43, s[0:3], 0 offen offset:44
	buffer_store_dword v40, v0, s[0:3], 0 offen offset:2056
	s_and_saveexec_b64 s[6:7], vcc
	s_xor_b64 s[6:7], exec, s[6:7]
	s_cbranch_execz .LBB7_157
; %bb.152:                              ;   in Loop: Header=BB7_15 Depth=1
	v_cmp_eq_u32_e32 vcc, 1, v2
	s_mov_b64 s[4:5], -1
	s_mov_b64 s[10:11], 0
	s_and_saveexec_b64 s[8:9], vcc
	s_cbranch_execz .LBB7_156
; %bb.153:                              ;   in Loop: Header=BB7_15 Depth=1
	buffer_load_dword v0, v43, s[0:3], 0 offen offset:48
	s_mov_b64 s[18:19], s[14:15]
	s_waitcnt vmcnt(0)
	v_cmp_ne_u32_e32 vcc, 0, v0
	v_cmp_eq_u32_e64 s[4:5], 0, v0
	s_and_saveexec_b64 s[12:13], s[4:5]
	s_xor_b64 s[4:5], exec, s[12:13]
	s_cbranch_execz .LBB7_155
; %bb.154:                              ;   in Loop: Header=BB7_15 Depth=1
	v_mov_b32_e32 v0, 0x9058
	s_mov_b32 s12, 0x9860
	buffer_store_dword v44, v0, s[0:3], 0 offen offset:2056
	v_lshl_add_u32 v0, v40, 3, s12
	v_mov_b32_e32 v1, 1
	s_mov_b64 s[10:11], exec
	buffer_store_dword v1, v0, s[0:3], 0 offen offset:12
	v_mov_b32_e32 v1, 3
	buffer_store_dword v1, v0, s[0:3], 0 offen offset:8
.LBB7_155:                              ;   in Loop: Header=BB7_15 Depth=1
	s_or_b64 exec, exec, s[4:5]
	s_and_b64 s[10:11], s[10:11], exec
	s_orn2_b64 s[4:5], vcc, exec
	s_mov_b64 s[14:15], s[18:19]
.LBB7_156:                              ;   in Loop: Header=BB7_15 Depth=1
	s_or_b64 exec, exec, s[8:9]
	s_and_b64 s[98:99], s[10:11], exec
	s_and_b64 s[4:5], s[4:5], exec
.LBB7_157:                              ;   in Loop: Header=BB7_15 Depth=1
	s_andn2_saveexec_b64 s[6:7], s[6:7]
; %bb.158:                              ;   in Loop: Header=BB7_15 Depth=1
	v_cmp_ne_u32_e32 vcc, 0, v2
	s_andn2_b64 s[4:5], s[4:5], exec
	s_and_b64 s[8:9], vcc, exec
	s_or_b64 s[4:5], s[4:5], s[8:9]
	s_mov_b64 s[34:35], exec
; %bb.159:                              ;   in Loop: Header=BB7_15 Depth=1
	s_or_b64 exec, exec, s[6:7]
	v_writelane_b32 v63, s16, 28
	v_writelane_b32 v63, s17, 29
	;; [unrolled: 1-line block ×4, first 2 shown]
	s_mov_b64 s[10:11], s[16:17]
	s_mov_b64 s[12:13], s[14:15]
	v_readlane_b32 s14, v63, 22
	v_readlane_b32 s16, v63, 24
	;; [unrolled: 1-line block ×3, first 2 shown]
	s_mov_b64 s[8:9], 0
	v_readlane_b32 s15, v63, 23
	v_readlane_b32 s17, v63, 25
	s_mov_b64 s[18:19], 0
	v_readlane_b32 s25, v63, 21
	v_mov_b32_e32 v6, v44
	s_and_saveexec_b64 s[36:37], s[4:5]
	s_cbranch_execz .LBB7_181
; %bb.160:                              ;   in Loop: Header=BB7_15 Depth=1
	v_readlane_b32 s12, v63, 30
	v_readlane_b32 s6, v63, 24
	;; [unrolled: 1-line block ×7, first 2 shown]
	v_cmp_lt_i32_e32 vcc, 0, v2
	s_mov_b64 s[4:5], -1
	v_mov_b32_e32 v0, -1
	s_mov_b64 s[16:17], 0
	v_readlane_b32 s27, v63, 29
	s_mov_b64 s[28:29], s[12:13]
	v_readlane_b32 s15, v63, 23
	s_mov_b64 s[30:31], s[6:7]
	s_mov_b64 s[48:49], 0
	v_readlane_b32 s25, v63, 21
	buffer_store_dword v16, v43, s[0:3], 0 offen offset:16
	s_and_saveexec_b64 s[6:7], vcc
	s_cbranch_execz .LBB7_164
; %bb.161:                              ;   in Loop: Header=BB7_15 Depth=1
	s_movk_i32 s4, 0x1001
	v_cmp_gt_u32_e32 vcc, s4, v2
	s_mov_b64 s[4:5], 0
	v_mov_b32_e32 v0, -1
	s_and_saveexec_b64 s[8:9], vcc
	s_cbranch_execz .LBB7_163
; %bb.162:                              ;   in Loop: Header=BB7_15 Depth=1
	v_lshlrev_b32_e32 v0, 1, v2
	buffer_store_dword v0, v43, s[0:3], 0 offen offset:44
	v_mov_b32_e32 v0, 0x1050
	v_lshl_add_u32 v0, v2, 3, v0
	v_lshlrev_b32_e32 v1, 2, v2
	v_sub_u32_e32 v0, v0, v1
	s_mov_b64 s[4:5], exec
	v_add_u32_e32 v0, 4, v0
.LBB7_163:                              ;   in Loop: Header=BB7_15 Depth=1
	s_or_b64 exec, exec, s[8:9]
	v_readlane_b32 s8, v63, 20
	v_readlane_b32 s9, v63, 21
	s_andn2_b64 s[24:25], s[8:9], exec
	v_readlane_b32 s8, v63, 24
	v_readlane_b32 s9, v63, 25
	s_andn2_b64 s[30:31], s[8:9], exec
	;; [unrolled: 3-line block ×4, first 2 shown]
	s_andn2_b64 s[26:27], s[8:9], exec
	s_orn2_b64 s[4:5], s[4:5], exec
	s_mov_b64 s[48:49], exec
.LBB7_164:                              ;   in Loop: Header=BB7_15 Depth=1
	s_or_b64 exec, exec, s[6:7]
	s_mov_b64 s[6:7], s[98:99]
                                        ; implicit-def: $vgpr6
	s_and_saveexec_b64 s[52:53], s[4:5]
	s_cbranch_execz .LBB7_180
; %bb.165:                              ;   in Loop: Header=BB7_15 Depth=1
	v_readlane_b32 s4, v62, 4
	v_readlane_b32 s5, v62, 5
	v_cmp_ne_u32_e32 vcc, -1, v0
	v_mov_b32_e32 v3, s5
	v_cndmask_b32_e32 v1, 0, v0, vcc
	v_cndmask_b32_e32 v3, 0, v3, vcc
	v_cmp_lt_i32_e32 vcc, 0, v2
	buffer_store_dword v3, v43, s[0:3], 0 offen offset:24
	buffer_store_dword v1, v43, s[0:3], 0 offen offset:20
	s_and_saveexec_b64 s[4:5], vcc
	s_cbranch_execz .LBB7_169
; %bb.166:                              ;   in Loop: Header=BB7_15 Depth=1
	s_mov_b64 s[6:7], 0
	v_mov_b32_e32 v1, v2
	v_readlane_b32 s8, v62, 13
.LBB7_167:                              ;   Parent Loop BB7_15 Depth=1
                                        ; =>  This Inner Loop Header: Depth=2
	v_mov_b32_e32 v3, s8
	buffer_load_dword v3, v3, s[0:3], 0 offen
	v_add_u32_e32 v1, -1, v1
	s_add_i32 s8, s8, 4
	v_cmp_eq_u32_e32 vcc, 0, v1
	s_or_b64 s[6:7], vcc, s[6:7]
	s_waitcnt vmcnt(0)
	v_lshrrev_b32_e32 v4, 1, v3
	v_or_b32_e32 v4, v4, v3
	v_and_b32_e32 v4, 0x55555555, v4
	v_lshl_add_u32 v4, v4, 1, v4
	v_xor_b32_e32 v3, v4, v3
	buffer_store_dword v3, v0, s[0:3], 0 offen
	v_add_u32_e32 v0, 4, v0
	s_andn2_b64 exec, exec, s[6:7]
	s_cbranch_execnz .LBB7_167
; %bb.168:                              ;   in Loop: Header=BB7_15 Depth=1
	s_or_b64 exec, exec, s[6:7]
	buffer_store_dword v2, v43, s[0:3], 0 offen offset:16
.LBB7_169:                              ;   in Loop: Header=BB7_15 Depth=1
	v_writelane_b32 v63, s52, 32
	v_writelane_b32 v63, s53, 33
	;; [unrolled: 1-line block ×18, first 2 shown]
	s_or_saveexec_b64 s[100:101], -1
	s_mov_b32 s6, 0x282300
	buffer_store_dword v63, off, s[0:3], s6 ; 4-byte Folded Spill
	s_mov_b64 exec, s[100:101]
	s_or_b64 exec, exec, s[4:5]
	s_add_u32 s8, s88, 0x80
	v_readlane_b32 s6, v62, 4
	s_mov_b32 s4, 0x282600
	s_addc_u32 s9, s89, 0
	v_readlane_b32 s7, v62, 5
	buffer_store_dword v15, off, s[0:3], s4 ; 4-byte Folded Spill
	s_nop 0
	buffer_store_dword v16, off, s[0:3], s4 offset:4 ; 4-byte Folded Spill
	v_lshlrev_b32_e32 v2, 1, v40
	s_getpc_b64 s[4:5]
	s_add_u32 s4, s4, _ZN3sop12sopFactorRecEPNS_3SopEiP7VecsMemIjLi8192EEPN8subgUtil4SubgILi256EEE@rel32@lo+4
	s_addc_u32 s5, s5, _ZN3sop12sopFactorRecEPNS_3SopEiP7VecsMemIjLi8192EEPN8subgUtil4SubgILi256EEE@rel32@hi+12
	v_mov_b32_e32 v0, 0x1030
	v_mov_b32_e32 v1, s7
	;; [unrolled: 1-line block ×6, first 2 shown]
	s_swappc_b64 s[30:31], s[4:5]
	v_mov_b32_e32 v1, 0x9058
	buffer_load_dword v6, v1, s[0:3], 0 offen offset:2056
	v_ashrrev_i32_e32 v1, 1, v0
	s_mov_b64 s[20:21], 0
	s_mov_b64 s[6:7], s[98:99]
	v_cmp_ge_i32_e32 vcc, v1, v40
	s_or_saveexec_b64 s[100:101], -1
	s_mov_b32 s4, 0x282300
	buffer_load_dword v62, off, s[0:3], s4  ; 4-byte Folded Reload
	s_mov_b64 exec, s[100:101]
	s_waitcnt vmcnt(0)
	v_readlane_b32 s38, v62, 44
	v_readlane_b32 s42, v62, 42
	;; [unrolled: 1-line block ×12, first 2 shown]
	s_mov_b64 s[4:5], s[38:39]
	s_mov_b64 s[8:9], s[42:43]
	;; [unrolled: 1-line block ×7, first 2 shown]
	s_mov_b64 s[22:23], exec
	s_and_b64 s[24:25], s[22:23], vcc
	v_readlane_b32 s34, v62, 48
	v_readlane_b32 s36, v62, 46
	;; [unrolled: 1-line block ×3, first 2 shown]
	s_xor_b64 s[22:23], s[24:25], s[22:23]
	v_readlane_b32 s35, v62, 49
	v_readlane_b32 s37, v62, 47
	;; [unrolled: 1-line block ×3, first 2 shown]
	s_or_saveexec_b64 s[100:101], -1
	v_mov_b32_e32 v63, v62
	s_mov_b64 exec, s[100:101]
	s_mov_b64 exec, s[24:25]
	s_cbranch_execz .LBB7_173
; %bb.170:                              ;   in Loop: Header=BB7_15 Depth=1
	v_mov_b32_e32 v0, 0x9860
	v_lshl_add_u32 v2, v6, 3, v0
	buffer_load_dword v0, v2, s[0:3], 0 offen
	buffer_load_dword v1, v2, s[0:3], 0 offen offset:4
	s_mov_b64 s[6:7], s[98:99]
	s_waitcnt vmcnt(1)
	v_lshrrev_b32_e32 v3, 1, v0
	s_waitcnt vmcnt(0)
	v_cmp_lt_i64_e32 vcc, -1, v[0:1]
	v_cmp_ge_i32_e64 s[4:5], v3, v1
	s_and_b64 s[4:5], vcc, s[4:5]
	s_and_saveexec_b64 s[8:9], s[4:5]
	s_xor_b64 s[4:5], exec, s[8:9]
	s_cbranch_execz .LBB7_172
; %bb.171:                              ;   in Loop: Header=BB7_15 Depth=1
	v_xor_b32_e32 v0, 1, v0
	buffer_store_dword v1, v2, s[0:3], 0 offen offset:4
	buffer_store_dword v0, v2, s[0:3], 0 offen
	s_or_b64 s[6:7], s[98:99], exec
.LBB7_172:                              ;   in Loop: Header=BB7_15 Depth=1
	s_or_b64 exec, exec, s[4:5]
	s_andn2_b64 s[18:19], s[98:99], exec
	s_and_b64 s[6:7], s[6:7], exec
	s_andn2_b64 s[16:17], s[50:51], exec
	s_andn2_b64 s[14:15], s[48:49], exec
	;; [unrolled: 1-line block ×6, first 2 shown]
	s_or_b64 s[6:7], s[18:19], s[6:7]
	s_mov_b64 s[18:19], exec
                                        ; implicit-def: $vgpr1
                                        ; implicit-def: $vgpr0
.LBB7_173:                              ;   in Loop: Header=BB7_15 Depth=1
	s_or_saveexec_b64 s[22:23], s[22:23]
	s_mov_b64 s[26:27], 0
	s_or_saveexec_b64 s[100:101], -1
	s_mov_b32 s24, 0x282000
	buffer_load_dword v62, off, s[0:3], s24 ; 4-byte Folded Reload
	s_mov_b64 exec, s[100:101]
	s_mov_b32 s24, 0x282600
	buffer_load_dword v15, off, s[0:3], s24 ; 4-byte Folded Reload
	buffer_load_dword v16, off, s[0:3], s24 offset:4 ; 4-byte Folded Reload
	s_mov_b32 s24, 0x282400
	buffer_load_dword v7, off, s[0:3], s24  ; 4-byte Folded Reload
	buffer_load_dword v8, off, s[0:3], s24 offset:4 ; 4-byte Folded Reload
	s_waitcnt vmcnt(4)
	v_readlane_b32 s88, v62, 40
	v_readlane_b32 s90, v61, 40
	;; [unrolled: 1-line block ×4, first 2 shown]
	s_xor_b64 exec, exec, s[22:23]
	s_cbranch_execz .LBB7_179
; %bb.174:                              ;   in Loop: Header=BB7_15 Depth=1
	v_cmp_eq_u32_e32 vcc, v6, v40
	s_mov_b64 s[28:29], -1
	s_mov_b64 s[24:25], s[6:7]
	s_and_saveexec_b64 s[20:21], vcc
	s_cbranch_execz .LBB7_178
; %bb.175:                              ;   in Loop: Header=BB7_15 Depth=1
	v_ashrrev_i32_e32 v2, 31, v1
	v_lshlrev_b64 v[1:2], 2, v[1:2]
	s_mov_b64 s[26:27], s[6:7]
	s_waitcnt vmcnt(1)
	v_add_co_u32_e32 v1, vcc, v7, v1
	s_waitcnt vmcnt(0)
	v_addc_co_u32_e32 v2, vcc, v8, v2, vcc
	global_load_dword v1, v[1:2], off
	s_waitcnt vmcnt(0)
	v_lshlrev_b32_e32 v1, 1, v1
	v_cmp_lt_i32_e32 vcc, -1, v1
	s_and_saveexec_b64 s[24:25], vcc
	s_xor_b64 s[24:25], exec, s[24:25]
	s_cbranch_execz .LBB7_177
; %bb.176:                              ;   in Loop: Header=BB7_15 Depth=1
	v_mov_b32_e32 v2, 0x9058
	v_bfi_b32 v0, v0, 0, 1
	buffer_store_dword v44, v2, s[0:3], 0 offen offset:2056
	v_mov_b32_e32 v2, 0x9860
	v_or_b32_e32 v1, v1, v0
	v_lshl_add_u32 v2, v40, 3, v2
	v_lshl_or_b32 v0, v1, 1, v0
	buffer_store_dword v1, v2, s[0:3], 0 offen offset:12
	buffer_store_dword v0, v2, s[0:3], 0 offen offset:8
	s_or_b64 s[26:27], s[6:7], exec
.LBB7_177:                              ;   in Loop: Header=BB7_15 Depth=1
	s_or_b64 exec, exec, s[24:25]
	s_andn2_b64 s[24:25], s[6:7], exec
	s_and_b64 s[26:27], s[26:27], exec
	s_xor_b64 s[28:29], exec, -1
	s_or_b64 s[24:25], s[24:25], s[26:27]
	s_mov_b64 s[26:27], exec
.LBB7_178:                              ;   in Loop: Header=BB7_15 Depth=1
	s_or_b64 exec, exec, s[20:21]
	s_andn2_b64 s[6:7], s[6:7], exec
	s_and_b64 s[24:25], s[24:25], exec
	s_andn2_b64 s[16:17], s[16:17], exec
	s_and_b64 s[26:27], s[26:27], exec
	s_and_b64 s[20:21], s[28:29], exec
	s_andn2_b64 s[18:19], s[18:19], exec
	s_andn2_b64 s[14:15], s[14:15], exec
	;; [unrolled: 1-line block ×6, first 2 shown]
	s_or_b64 s[6:7], s[6:7], s[24:25]
	v_mov_b32_e32 v6, v44
.LBB7_179:                              ;   in Loop: Header=BB7_15 Depth=1
	s_or_b64 exec, exec, s[22:23]
	s_andn2_b64 s[22:23], s[50:51], exec
	s_and_b64 s[16:17], s[16:17], exec
	s_or_b64 s[24:25], s[22:23], s[16:17]
	s_and_b64 s[16:17], s[18:19], exec
	s_andn2_b64 s[18:19], s[48:49], exec
	s_and_b64 s[14:15], s[14:15], exec
	s_or_b64 s[48:49], s[18:19], s[14:15]
	s_andn2_b64 s[14:15], s[46:47], exec
	s_and_b64 s[12:13], s[12:13], exec
	s_or_b64 s[30:31], s[14:15], s[12:13]
	;; [unrolled: 3-line block ×4, first 2 shown]
	s_andn2_b64 s[8:9], s[38:39], exec
	s_and_b64 s[4:5], s[4:5], exec
	s_and_b64 s[22:23], s[26:27], exec
	s_or_b64 s[26:27], s[8:9], s[4:5]
	s_andn2_b64 s[4:5], s[98:99], exec
	s_and_b64 s[6:7], s[6:7], exec
	s_and_b64 s[20:21], s[20:21], exec
	s_or_b64 s[6:7], s[4:5], s[6:7]
.LBB7_180:                              ;   in Loop: Header=BB7_15 Depth=1
	s_or_b64 exec, exec, s[52:53]
	v_readlane_b32 s4, v63, 20
	v_readlane_b32 s5, v63, 21
	s_andn2_b64 s[4:5], s[4:5], exec
	s_and_b64 s[8:9], s[24:25], exec
	s_or_b64 s[24:25], s[4:5], s[8:9]
	v_readlane_b32 s4, v63, 24
	v_readlane_b32 s5, v63, 25
	s_andn2_b64 s[4:5], s[4:5], exec
	s_and_b64 s[10:11], s[30:31], exec
	s_and_b64 s[18:19], s[16:17], exec
	s_or_b64 s[16:17], s[4:5], s[10:11]
	v_readlane_b32 s4, v63, 22
	v_readlane_b32 s5, v63, 23
	s_andn2_b64 s[4:5], s[4:5], exec
	s_and_b64 s[10:11], s[14:15], exec
	s_or_b64 s[14:15], s[4:5], s[10:11]
	v_readlane_b32 s4, v63, 30
	v_readlane_b32 s5, v63, 31
	s_andn2_b64 s[4:5], s[4:5], exec
	;; [unrolled: 5-line block ×3, first 2 shown]
	s_and_b64 s[10:11], s[26:27], exec
	s_or_b64 s[10:11], s[4:5], s[10:11]
	s_andn2_b64 s[4:5], s[98:99], exec
	s_and_b64 s[6:7], s[6:7], exec
	s_and_b64 s[22:23], s[22:23], exec
	;; [unrolled: 1-line block ×4, first 2 shown]
	s_or_b64 s[98:99], s[4:5], s[6:7]
	s_andn2_b64 s[34:35], s[34:35], exec
.LBB7_181:                              ;   in Loop: Header=BB7_15 Depth=1
	s_or_b64 exec, exec, s[36:37]
	s_and_saveexec_b64 s[4:5], s[34:35]
	s_cbranch_execz .LBB7_183
; %bb.182:                              ;   in Loop: Header=BB7_15 Depth=1
	v_mov_b32_e32 v0, 0x9058
	buffer_store_dword v44, v0, s[0:3], 0 offen offset:2056
	v_mov_b32_e32 v0, 0x9860
	v_lshl_add_u32 v0, v40, 3, v0
	s_or_b64 s[98:99], s[98:99], exec
	v_mov_b32_e32 v6, v44
	s_waitcnt vmcnt(3)
	buffer_store_dword v16, v0, s[0:3], 0 offen offset:12
	buffer_store_dword v16, v0, s[0:3], 0 offen offset:8
.LBB7_183:                              ;   in Loop: Header=BB7_15 Depth=1
	s_or_b64 exec, exec, s[4:5]
	s_mov_b64 s[6:7], -1
	s_mov_b64 s[4:5], 0
	s_mov_b64 s[28:29], 0
	;; [unrolled: 1-line block ×7, first 2 shown]
	s_and_saveexec_b64 s[26:27], s[98:99]
	s_cbranch_execz .LBB7_4
; %bb.184:                              ;   in Loop: Header=BB7_15 Depth=1
	v_cmp_ne_u32_e64 s[4:5], v6, v44
	v_cmp_eq_u32_e32 vcc, v6, v44
	s_mov_b64 s[6:7], 0
	s_and_saveexec_b64 s[30:31], vcc
	s_cbranch_execz .LBB7_186
; %bb.185:                              ;   in Loop: Header=BB7_15 Depth=1
	v_mov_b32_e32 v0, 0x9860
	v_lshl_add_u32 v0, v40, 3, v0
	buffer_load_dword v1, v0, s[0:3], 0 offen offset:8
	s_nop 0
	buffer_load_dword v0, v0, s[0:3], 0 offen offset:12
	s_andn2_b64 s[4:5], s[4:5], exec
	s_waitcnt vmcnt(1)
	v_lshrrev_b32_e32 v1, 1, v1
	s_waitcnt vmcnt(0)
	v_cmp_ne_u32_e32 vcc, v1, v0
	s_and_b64 s[28:29], vcc, exec
	s_or_b64 s[4:5], s[4:5], s[28:29]
	s_mov_b64 s[28:29], exec
.LBB7_186:                              ;   in Loop: Header=BB7_15 Depth=1
	s_or_b64 exec, exec, s[30:31]
	v_mov_b32_e32 v0, 0
	s_mov_b64 s[30:31], s[10:11]
	s_mov_b64 s[34:35], s[12:13]
	;; [unrolled: 1-line block ×10, first 2 shown]
	s_mov_b64 s[52:53], exec
	s_mov_b32 s33, 0x282900
	buffer_load_dword v18, off, s[0:3], s33 ; 4-byte Folded Reload
	s_mov_b32 s33, 0x281e00
	buffer_load_dword v19, off, s[0:3], s33 ; 4-byte Folded Reload
	buffer_load_dword v20, off, s[0:3], s33 offset:4 ; 4-byte Folded Reload
	s_and_b64 s[4:5], s[52:53], s[4:5]
	s_mov_b64 exec, s[4:5]
	s_cbranch_execz .LBB7_221
; %bb.187:                              ;   in Loop: Header=BB7_15 Depth=1
	v_cmp_lt_i32_e32 vcc, 0, v40
	s_and_saveexec_b64 s[4:5], vcc
	v_readlane_b32 s36, v62, 32
	v_readlane_b32 s37, v62, 33
	v_readlane_b32 s38, v62, 34
	v_readlane_b32 s39, v62, 35
	v_readlane_b32 s40, v62, 36
	v_readlane_b32 s41, v62, 37
	v_readlane_b32 s42, v62, 38
	v_readlane_b32 s43, v62, 39
	s_cbranch_execz .LBB7_190
; %bb.188:                              ;   in Loop: Header=BB7_15 Depth=1
	s_movk_i32 s30, 0x410
	s_mov_b32 s31, 16
	v_mov_b32_e32 v0, v40
.LBB7_189:                              ;   Parent Loop BB7_15 Depth=1
                                        ; =>  This Inner Loop Header: Depth=2
	s_waitcnt vmcnt(3)
	global_load_dword v1, v[7:8], off
	v_mov_b32_e32 v3, s31
	v_add_u32_e32 v0, -1, v0
	s_add_i32 s31, s31, 4
	s_waitcnt vmcnt(0)
	v_ashrrev_i32_e32 v2, 31, v1
	buffer_store_dword v1, v3, s[0:3], 0 offen
	v_lshlrev_b64 v[1:2], 2, v[1:2]
	v_mov_b32_e32 v3, s37
	v_add_co_u32_e32 v1, vcc, s36, v1
	v_addc_co_u32_e32 v2, vcc, v3, v2, vcc
	global_load_dword v1, v[1:2], off
	v_add_co_u32_e32 v7, vcc, 4, v7
	v_addc_co_u32_e32 v8, vcc, 0, v8, vcc
	v_mov_b32_e32 v2, s30
	s_add_i32 s30, s30, 4
	v_cmp_eq_u32_e32 vcc, 0, v0
	s_or_b64 s[6:7], vcc, s[6:7]
	s_waitcnt vmcnt(0)
	buffer_store_dword v1, v2, s[0:3], 0 offen
	s_andn2_b64 exec, exec, s[6:7]
	s_cbranch_execnz .LBB7_189
.LBB7_190:                              ;   in Loop: Header=BB7_15 Depth=1
	s_or_b64 exec, exec, s[4:5]
	v_cmp_lt_i32_e32 vcc, v40, v6
	s_mov_b64 s[56:57], -1
	v_mov_b32_e32 v1, 0
	s_mov_b64 s[4:5], 0
	s_mov_b64 s[54:55], s[10:11]
	;; [unrolled: 1-line block ×12, first 2 shown]
	s_and_saveexec_b64 s[30:31], vcc
	s_cbranch_execz .LBB7_218
; %bb.191:                              ;   in Loop: Header=BB7_15 Depth=1
	s_waitcnt vmcnt(4)
	v_mov_b32_e32 v7, 0
	s_mov_b64 s[42:43], 0
	s_waitcnt vmcnt(3)
	v_mov_b32_e32 v8, v40
                                        ; implicit-def: $sgpr40_sgpr41
                                        ; implicit-def: $sgpr38_sgpr39
                                        ; implicit-def: $sgpr36_sgpr37
                                        ; implicit-def: $sgpr34_sgpr35
                                        ; implicit-def: $sgpr48_sgpr49
                                        ; implicit-def: $sgpr44_sgpr45
                                        ; implicit-def: $sgpr46_sgpr47
                                        ; implicit-def: $sgpr50_sgpr51
                                        ; implicit-def: $sgpr54_sgpr55
	s_branch .LBB7_197
.LBB7_192:                              ;   in Loop: Header=BB7_197 Depth=2
	s_or_b64 exec, exec, s[72:73]
	s_andn2_b64 s[64:65], s[64:65], exec
	s_and_b64 s[70:71], s[70:71], exec
	s_or_b64 s[64:65], s[64:65], s[70:71]
	s_andn2_b64 s[60:61], s[60:61], exec
	s_orn2_b64 s[70:71], s[68:69], exec
.LBB7_193:                              ;   in Loop: Header=BB7_197 Depth=2
	s_or_b64 exec, exec, s[66:67]
	s_andn2_b64 s[4:5], s[4:5], exec
	s_and_b64 s[64:65], s[64:65], exec
	s_andn2_b64 s[6:7], s[6:7], exec
	s_and_b64 s[60:61], s[60:61], exec
	s_or_b64 s[4:5], s[4:5], s[64:65]
	s_or_b64 s[6:7], s[6:7], s[60:61]
	s_orn2_b64 s[60:61], s[70:71], exec
.LBB7_194:                              ;   in Loop: Header=BB7_197 Depth=2
	s_or_b64 exec, exec, s[62:63]
	s_and_b64 s[62:63], s[4:5], exec
	s_orn2_b64 s[6:7], s[6:7], exec
	s_orn2_b64 s[4:5], s[60:61], exec
.LBB7_195:                              ;   in Loop: Header=BB7_197 Depth=2
	s_or_b64 exec, exec, s[58:59]
	s_andn2_b64 s[50:51], s[50:51], exec
	s_and_b64 s[6:7], s[6:7], exec
	s_andn2_b64 s[54:55], s[54:55], exec
	s_and_b64 s[58:59], s[62:63], exec
	s_or_b64 s[50:51], s[50:51], s[6:7]
	s_andn2_b64 s[6:7], s[48:49], exec
	s_and_b64 s[4:5], s[4:5], exec
	s_or_b64 s[54:55], s[54:55], s[58:59]
	s_andn2_b64 s[46:47], s[46:47], exec
	s_or_b64 s[44:45], s[44:45], exec
	s_or_b64 s[48:49], s[6:7], s[4:5]
.LBB7_196:                              ;   in Loop: Header=BB7_197 Depth=2
	s_or_b64 exec, exec, s[56:57]
	s_xor_b64 s[4:5], s[54:55], -1
	s_xor_b64 s[6:7], s[50:51], -1
	s_and_b64 s[56:57], exec, s[48:49]
	s_or_b64 s[42:43], s[56:57], s[42:43]
	s_andn2_b64 s[34:35], s[34:35], exec
	s_and_b64 s[56:57], s[46:47], exec
	s_andn2_b64 s[38:39], s[38:39], exec
	s_and_b64 s[4:5], s[4:5], exec
	s_or_b64 s[34:35], s[34:35], s[56:57]
	s_andn2_b64 s[36:37], s[36:37], exec
	s_and_b64 s[56:57], s[44:45], exec
	s_or_b64 s[38:39], s[38:39], s[4:5]
	;; [unrolled: 3-line block ×3, first 2 shown]
	s_or_b64 s[40:41], s[4:5], s[6:7]
	s_andn2_b64 exec, exec, s[42:43]
	s_cbranch_execz .LBB7_215
.LBB7_197:                              ;   Parent Loop BB7_15 Depth=1
                                        ; =>  This Loop Header: Depth=2
                                        ;       Child Loop BB7_203 Depth 3
	v_mov_b32_e32 v0, 0x9860
	v_lshl_add_u32 v0, v8, 3, v0
	buffer_load_dword v1, v0, s[0:3], 0 offen offset:8
	buffer_load_dword v2, v0, s[0:3], 0 offen offset:12
	s_andn2_b64 s[54:55], s[54:55], exec
	s_or_b64 s[50:51], s[50:51], exec
	s_or_b64 s[46:47], s[46:47], exec
	s_andn2_b64 s[44:45], s[44:45], exec
	s_or_b64 s[48:49], s[48:49], exec
	s_waitcnt vmcnt(1)
	v_lshrrev_b32_e32 v0, 1, v1
	s_waitcnt vmcnt(0)
	v_cmp_gt_i32_e32 vcc, v0, v2
	s_and_saveexec_b64 s[56:57], vcc
	s_cbranch_execz .LBB7_196
; %bb.198:                              ;   in Loop: Header=BB7_197 Depth=2
	v_ashrrev_i32_e32 v10, 1, v2
	v_lshrrev_b32_e32 v9, 2, v1
	v_max_i32_e32 v0, v9, v10
	v_cmp_lt_i32_e32 vcc, v0, v8
	s_mov_b64 s[4:5], -1
	s_mov_b64 s[62:63], 0
	s_mov_b64 s[6:7], -1
	s_and_saveexec_b64 s[58:59], vcc
	s_cbranch_execz .LBB7_195
; %bb.199:                              ;   in Loop: Header=BB7_197 Depth=2
	v_mov_b32_e32 v4, 16
	v_lshl_add_u32 v0, v10, 2, v4
	buffer_load_dword v3, v0, s[0:3], 0 offen
	v_lshl_add_u32 v0, v9, 2, v4
	buffer_load_dword v4, v0, s[0:3], 0 offen
	v_mov_b32_e32 v17, 16
	v_mov_b32_e32 v0, -1
	s_mov_b64 s[60:61], -1
	s_mov_b64 s[64:65], -1
	s_waitcnt vmcnt(1)
	v_cmp_ne_u32_e32 vcc, -1, v3
	s_waitcnt vmcnt(0)
	v_cmp_ne_u32_e64 s[4:5], -1, v4
	s_and_b64 s[66:67], vcc, s[4:5]
	s_mov_b64 s[4:5], 0
	s_and_saveexec_b64 s[62:63], s[66:67]
	s_cbranch_execz .LBB7_209
; %bb.200:                              ;   in Loop: Header=BB7_197 Depth=2
	v_and_b32_e32 v0, 1, v2
	v_bfe_u32 v1, v1, 1, 1
	v_lshl_or_b32 v0, v3, 1, v0
	v_lshl_or_b32 v2, v4, 1, v1
	v_min_i32_e32 v1, v0, v2
	v_max_i32_e32 v0, v0, v2
	v_lshrrev_b32_e32 v2, 1, v1
	v_xor_b32_e32 v2, v0, v2
	s_mov_b32 s4, 0xff51afd7
	s_mov_b32 s6, 0xed558ccd
	v_mul_lo_u32 v4, v2, s4
	v_mad_u64_u32 v[2:3], s[4:5], v2, s6, 0
	v_mul_lo_u32 v5, v1, s6
	v_readlane_b32 s70, v62, 10
	v_readlane_b32 s71, v62, 11
	v_cvt_f32_u32_e32 v11, s70
	v_add3_u32 v3, v3, v4, v5
	v_cvt_f32_u32_e32 v12, s71
	v_lshrrev_b32_e32 v4, 1, v3
	v_xor_b32_e32 v2, v4, v2
	s_mov_b32 s4, 0x1a85ec53
	s_mov_b32 s5, 0xc4ceb9fe
	v_mul_lo_u32 v4, v3, s4
	v_mul_lo_u32 v5, v2, s5
	v_mad_u64_u32 v[2:3], s[4:5], v2, s4, 0
	v_mac_f32_e32 v11, 0x4f800000, v12
	v_rcp_f32_e32 v11, v11
	v_add3_u32 v12, v3, v5, v4
	v_lshrrev_b32_e32 v3, 1, v12
	v_xor_b32_e32 v13, v3, v2
	v_mul_f32_e32 v2, 0x5f7ffffc, v11
	v_mul_f32_e32 v3, 0x2f800000, v2
	v_trunc_f32_e32 v3, v3
	v_mac_f32_e32 v2, 0xcf800000, v3
	v_cvt_u32_f32_e32 v2, v2
	v_cvt_u32_f32_e32 v3, v3
	s_sub_u32 s6, 0, s70
	s_subb_u32 s7, 0, s71
	v_readfirstlane_b32 s4, v2
	v_readfirstlane_b32 s64, v3
	s_mul_hi_u32 s33, s6, s4
	s_mul_i32 s65, s6, s64
	s_mul_i32 s5, s7, s4
	s_add_i32 s33, s33, s65
	s_add_i32 s33, s33, s5
	s_mul_i32 s66, s6, s4
	s_mul_i32 s65, s4, s33
	s_mul_hi_u32 s67, s4, s66
	s_mul_hi_u32 s5, s4, s33
	s_add_u32 s65, s67, s65
	s_addc_u32 s5, 0, s5
	s_mul_hi_u32 s68, s64, s66
	s_mul_i32 s66, s64, s66
	s_add_u32 s65, s65, s66
	s_mul_hi_u32 s67, s64, s33
	s_addc_u32 s5, s5, s68
	s_addc_u32 s65, s67, 0
	s_mul_i32 s33, s64, s33
	s_add_u32 s5, s5, s33
	s_addc_u32 s33, 0, s65
	s_add_u32 s65, s4, s5
	s_cselect_b64 s[4:5], -1, 0
	s_cmp_lg_u64 s[4:5], 0
	s_addc_u32 s33, s64, s33
	s_mul_i32 s4, s6, s33
	s_mul_hi_u32 s5, s6, s65
	s_add_i32 s4, s5, s4
	s_mul_i32 s7, s7, s65
	s_add_i32 s4, s4, s7
	s_mul_i32 s6, s6, s65
	s_mul_hi_u32 s7, s33, s6
	s_mul_i32 s64, s33, s6
	s_mul_i32 s67, s65, s4
	s_mul_hi_u32 s6, s65, s6
	s_mul_hi_u32 s66, s65, s4
	s_add_u32 s6, s6, s67
	s_addc_u32 s66, 0, s66
	s_add_u32 s6, s6, s64
	s_mul_hi_u32 s5, s33, s4
	s_addc_u32 s6, s66, s7
	s_addc_u32 s5, s5, 0
	s_mul_i32 s4, s33, s4
	s_add_u32 s4, s6, s4
	s_addc_u32 s6, 0, s5
	s_add_u32 s7, s65, s4
	s_cselect_b64 s[4:5], -1, 0
	s_cmp_lg_u64 s[4:5], 0
	s_addc_u32 s6, s33, s6
	v_mad_u64_u32 v[2:3], s[4:5], v13, s6, 0
	v_mul_hi_u32 v4, v13, s7
	v_add_co_u32_e32 v11, vcc, v4, v2
	v_addc_co_u32_e32 v14, vcc, 0, v3, vcc
	v_mad_u64_u32 v[2:3], s[4:5], v12, s7, 0
	v_mad_u64_u32 v[4:5], s[4:5], v12, s6, 0
	v_add_co_u32_e32 v2, vcc, v11, v2
	v_addc_co_u32_e32 v2, vcc, v14, v3, vcc
	v_addc_co_u32_e32 v3, vcc, 0, v5, vcc
	v_add_co_u32_e32 v2, vcc, v2, v4
	v_addc_co_u32_e32 v3, vcc, 0, v3, vcc
	v_mul_lo_u32 v4, s71, v2
	v_mul_lo_u32 v5, s70, v3
	v_mad_u64_u32 v[2:3], s[4:5], s70, v2, 0
	v_add3_u32 v3, v3, v5, v4
	v_sub_u32_e32 v4, v12, v3
	v_mov_b32_e32 v5, s71
	v_sub_co_u32_e32 v2, vcc, v13, v2
	v_subb_co_u32_e64 v4, s[4:5], v4, v5, vcc
	v_subrev_co_u32_e64 v11, s[4:5], s70, v2
	v_subbrev_co_u32_e64 v13, s[6:7], 0, v4, s[4:5]
	v_cmp_le_u32_e64 s[6:7], s71, v13
	v_cndmask_b32_e64 v14, 0, -1, s[6:7]
	v_cmp_le_u32_e64 s[6:7], s70, v11
	v_subb_co_u32_e64 v4, s[4:5], v4, v5, s[4:5]
	v_cndmask_b32_e64 v15, 0, -1, s[6:7]
	v_cmp_eq_u32_e64 s[6:7], s71, v13
	v_subrev_co_u32_e64 v5, s[4:5], s70, v11
	v_subb_co_u32_e32 v3, vcc, v12, v3, vcc
	v_cndmask_b32_e64 v14, v14, v15, s[6:7]
	v_subbrev_co_u32_e64 v4, s[4:5], 0, v4, s[4:5]
	v_cmp_le_u32_e32 vcc, s71, v3
	v_cmp_ne_u32_e64 s[4:5], 0, v14
	v_cndmask_b32_e64 v12, 0, -1, vcc
	v_cmp_le_u32_e32 vcc, s70, v2
	v_cndmask_b32_e64 v4, v13, v4, s[4:5]
	v_cndmask_b32_e64 v13, 0, -1, vcc
	v_cmp_eq_u32_e32 vcc, s71, v3
	v_cndmask_b32_e32 v12, v12, v13, vcc
	v_cmp_ne_u32_e32 vcc, 0, v12
	v_cndmask_b32_e32 v3, v3, v4, vcc
	v_cndmask_b32_e64 v4, v11, v5, s[4:5]
	v_cndmask_b32_e32 v2, v2, v4, vcc
	v_lshlrev_b64 v[4:5], 3, v[2:3]
	v_readlane_b32 s4, v62, 6
	v_readlane_b32 s5, v62, 7
	v_mov_b32_e32 v11, s5
	v_add_co_u32_e32 v4, vcc, s4, v4
	v_addc_co_u32_e32 v5, vcc, v11, v5, vcc
	global_load_dwordx2 v[4:5], v[4:5], off
	v_readlane_b32 s6, v62, 8
	v_readlane_b32 s7, v62, 9
	s_mov_b64 s[6:7], -1
	s_waitcnt vmcnt(0)
	v_cmp_ne_u64_e32 vcc, v[4:5], v[0:1]
	s_and_saveexec_b64 s[4:5], vcc
	s_cbranch_execz .LBB7_206
; %bb.201:                              ;   in Loop: Header=BB7_197 Depth=2
	s_mov_b64 s[6:7], 0
                                        ; implicit-def: $sgpr64_sgpr65
                                        ; implicit-def: $sgpr68_sgpr69
                                        ; implicit-def: $sgpr66_sgpr67
	s_branch .LBB7_203
.LBB7_202:                              ;   in Loop: Header=BB7_203 Depth=3
	s_or_b64 exec, exec, s[70:71]
	s_xor_b64 s[70:71], s[66:67], -1
	s_and_b64 s[72:73], exec, s[68:69]
	s_or_b64 s[6:7], s[72:73], s[6:7]
	s_andn2_b64 s[64:65], s[64:65], exec
	s_and_b64 s[70:71], s[70:71], exec
	s_or_b64 s[64:65], s[64:65], s[70:71]
	s_andn2_b64 exec, exec, s[6:7]
	s_cbranch_execz .LBB7_205
.LBB7_203:                              ;   Parent Loop BB7_15 Depth=1
                                        ;     Parent Loop BB7_197 Depth=2
                                        ; =>    This Inner Loop Header: Depth=3
	v_cmp_ne_u64_e32 vcc, -1, v[4:5]
	s_or_b64 s[66:67], s[66:67], exec
	s_or_b64 s[68:69], s[68:69], exec
                                        ; implicit-def: $vgpr4_vgpr5
	s_and_saveexec_b64 s[70:71], vcc
	s_cbranch_execz .LBB7_202
; %bb.204:                              ;   in Loop: Header=BB7_203 Depth=3
	v_add_co_u32_e32 v2, vcc, 1, v2
	v_readlane_b32 s72, v62, 10
	v_addc_co_u32_e32 v3, vcc, 0, v3, vcc
	v_readlane_b32 s73, v62, 11
	v_cmp_ne_u64_e32 vcc, s[72:73], v[2:3]
	v_readlane_b32 s72, v62, 6
	v_cndmask_b32_e32 v3, 0, v3, vcc
	v_cndmask_b32_e32 v2, 0, v2, vcc
	v_lshlrev_b64 v[4:5], 3, v[2:3]
	v_readlane_b32 s73, v62, 7
	v_mov_b32_e32 v11, s73
	v_add_co_u32_e32 v4, vcc, s72, v4
	v_addc_co_u32_e32 v5, vcc, v11, v5, vcc
	global_load_dwordx2 v[4:5], v[4:5], off
	s_andn2_b64 s[68:69], s[68:69], exec
	s_andn2_b64 s[66:67], s[66:67], exec
	v_readlane_b32 s74, v62, 8
	v_readlane_b32 s75, v62, 9
	s_waitcnt vmcnt(0)
	v_cmp_eq_u64_e32 vcc, v[4:5], v[0:1]
	s_and_b64 s[72:73], vcc, exec
	s_or_b64 s[68:69], s[68:69], s[72:73]
	s_branch .LBB7_202
.LBB7_205:                              ;   in Loop: Header=BB7_197 Depth=2
	s_or_b64 exec, exec, s[6:7]
	s_orn2_b64 s[6:7], s[64:65], exec
.LBB7_206:                              ;   in Loop: Header=BB7_197 Depth=2
	s_or_b64 exec, exec, s[4:5]
	v_mov_b32_e32 v0, -1
	s_and_saveexec_b64 s[4:5], s[6:7]
	s_cbranch_execz .LBB7_208
; %bb.207:                              ;   in Loop: Header=BB7_197 Depth=2
	v_lshlrev_b64 v[0:1], 2, v[2:3]
	v_readlane_b32 s64, v62, 6
	v_readlane_b32 s66, v62, 8
	;; [unrolled: 1-line block ×3, first 2 shown]
	v_mov_b32_e32 v2, s67
	v_add_co_u32_e32 v0, vcc, s66, v0
	v_addc_co_u32_e32 v1, vcc, v2, v1, vcc
	global_load_dword v0, v[0:1], off
	v_readlane_b32 s65, v62, 7
.LBB7_208:                              ;   in Loop: Header=BB7_197 Depth=2
	s_or_b64 exec, exec, s[4:5]
	s_mov_b32 s4, 0x281c00
	buffer_load_dword v1, off, s[0:3], s4   ; 4-byte Folded Reload
	buffer_load_dword v2, off, s[0:3], s4 offset:4 ; 4-byte Folded Reload
	s_xor_b64 s[6:7], exec, -1
	s_mov_b64 s[4:5], exec
	s_waitcnt vmcnt(1)
	v_cmp_ne_u32_e32 vcc, v0, v1
	s_orn2_b64 s[64:65], vcc, exec
.LBB7_209:                              ;   in Loop: Header=BB7_197 Depth=2
	s_or_b64 exec, exec, s[62:63]
	s_and_saveexec_b64 s[62:63], s[64:65]
	s_cbranch_execz .LBB7_194
; %bb.210:                              ;   in Loop: Header=BB7_197 Depth=2
	v_cmp_ne_u32_e64 s[68:69], -1, v0
	v_cmp_eq_u32_e32 vcc, -1, v0
	s_mov_b64 s[60:61], s[6:7]
	s_mov_b64 s[64:65], s[4:5]
	s_and_saveexec_b64 s[66:67], vcc
; %bb.211:                              ;   in Loop: Header=BB7_197 Depth=2
	v_cmp_lt_i32_e32 vcc, v7, v58
	v_add_u32_e32 v1, 1, v7
	s_andn2_b64 s[68:69], s[68:69], exec
	s_and_b64 s[70:71], vcc, exec
	s_or_b64 s[64:65], s[4:5], exec
	s_andn2_b64 s[60:61], s[6:7], exec
	s_or_b64 s[68:69], s[68:69], s[70:71]
	v_mov_b32_e32 v7, v1
; %bb.212:                              ;   in Loop: Header=BB7_197 Depth=2
	s_or_b64 exec, exec, s[66:67]
	s_mov_b64 s[70:71], -1
	s_and_saveexec_b64 s[66:67], s[68:69]
	s_cbranch_execz .LBB7_193
; %bb.213:                              ;   in Loop: Header=BB7_197 Depth=2
	v_mov_b32_e32 v3, 0x410
	v_lshl_add_u32 v1, v10, 2, v3
	s_waitcnt vmcnt(0)
	v_lshl_add_u32 v2, v9, 2, v3
	buffer_load_dword v1, v1, s[0:3], 0 offen
	s_mov_b32 s33, 0x3b9aca00
	buffer_load_dword v2, v2, s[0:3], 0 offen
	v_lshl_add_u32 v3, v8, 2, v3
	s_mov_b64 s[68:69], -1
	s_waitcnt vmcnt(0)
	v_max_i32_e32 v1, v1, v2
	v_add_u32_e32 v2, 1, v1
	v_cmp_gt_i32_e32 vcc, s33, v1
	buffer_store_dword v2, v3, s[0:3], 0 offen
	s_and_saveexec_b64 s[72:73], vcc
	s_cbranch_execz .LBB7_192
; %bb.214:                              ;   in Loop: Header=BB7_197 Depth=2
	v_lshl_add_u32 v1, v8, 2, v17
	v_add_u32_e32 v8, 1, v8
	v_cmp_ge_i32_e32 vcc, v8, v6
	s_xor_b64 s[70:71], exec, -1
	s_orn2_b64 s[68:69], vcc, exec
	buffer_store_dword v0, v1, s[0:3], 0 offen
	s_branch .LBB7_192
.LBB7_215:                              ;   in Loop: Header=BB7_15 Depth=1
	s_or_b64 exec, exec, s[42:43]
	s_mov_b64 s[56:57], 0
	v_mov_b32_e32 v1, 0
	s_mov_b64 s[4:5], 0
	s_and_saveexec_b64 s[6:7], s[40:41]
	s_xor_b64 s[6:7], exec, s[6:7]
; %bb.216:                              ;   in Loop: Header=BB7_15 Depth=1
	s_and_b64 s[56:57], s[38:39], exec
	s_mov_b64 s[4:5], exec
	v_mov_b32_e32 v1, v7
; %bb.217:                              ;   in Loop: Header=BB7_15 Depth=1
	s_or_b64 exec, exec, s[6:7]
	s_andn2_b64 s[50:51], s[24:25], exec
	s_and_b64 s[48:49], s[36:37], exec
	s_and_b64 s[6:7], s[34:35], exec
	s_andn2_b64 s[46:47], s[22:23], exec
	s_andn2_b64 s[44:45], s[20:21], exec
	;; [unrolled: 1-line block ×8, first 2 shown]
	s_and_b64 s[4:5], s[4:5], exec
	s_orn2_b64 s[56:57], s[56:57], exec
.LBB7_218:                              ;   in Loop: Header=BB7_15 Depth=1
	s_or_b64 exec, exec, s[30:31]
	v_mov_b32_e32 v0, -1
	s_and_saveexec_b64 s[30:31], s[56:57]
	s_cbranch_execz .LBB7_220
; %bb.219:                              ;   in Loop: Header=BB7_15 Depth=1
	v_lshlrev_b32_e32 v0, 2, v6
	s_movk_i32 s33, 0x410
	v_add3_u32 v0, s33, v0, -4
	buffer_load_dword v18, v0, s[0:3], 0 offen
	s_or_b64 s[4:5], s[4:5], exec
	v_mov_b32_e32 v0, v1
.LBB7_220:                              ;   in Loop: Header=BB7_15 Depth=1
	s_or_b64 exec, exec, s[30:31]
	s_andn2_b64 s[30:31], s[24:25], exec
	s_and_b64 s[50:51], s[50:51], exec
	s_or_b64 s[50:51], s[30:31], s[50:51]
	s_andn2_b64 s[30:31], s[22:23], exec
	s_and_b64 s[46:47], s[46:47], exec
	s_or_b64 s[46:47], s[30:31], s[46:47]
	;; [unrolled: 3-line block ×8, first 2 shown]
	s_andn2_b64 s[30:31], s[10:11], exec
	s_and_b64 s[54:55], s[54:55], exec
	s_andn2_b64 s[28:29], s[28:29], exec
	s_and_b64 s[4:5], s[4:5], exec
	s_and_b64 s[48:49], s[48:49], exec
	;; [unrolled: 1-line block ×3, first 2 shown]
	s_or_b64 s[30:31], s[30:31], s[54:55]
	s_or_b64 s[28:29], s[28:29], s[4:5]
.LBB7_221:                              ;   in Loop: Header=BB7_15 Depth=1
	s_or_b64 exec, exec, s[52:53]
	s_mov_b64 s[54:55], -1
	s_mov_b64 s[72:73], 0
	s_mov_b64 s[74:75], 0
	;; [unrolled: 1-line block ×5, first 2 shown]
	s_and_saveexec_b64 s[52:53], s[28:29]
	s_cbranch_execz .LBB7_3
; %bb.222:                              ;   in Loop: Header=BB7_15 Depth=1
	s_mov_b32 s4, 0x282100
	buffer_load_dword v3, off, s[0:3], s4   ; 4-byte Folded Reload
	v_cmp_lt_i32_e32 vcc, -1, v0
	s_waitcnt vmcnt(0)
	v_ashrrev_i32_e32 v2, 31, v3
	s_and_saveexec_b64 s[28:29], vcc
	s_cbranch_execz .LBB7_234
; %bb.223:                              ;   in Loop: Header=BB7_15 Depth=1
	v_cmp_ne_u32_e32 vcc, -1, v3
	v_mov_b32_e32 v1, 1
	s_and_saveexec_b64 s[54:55], vcc
	s_cbranch_execz .LBB7_233
; %bb.224:                              ;   in Loop: Header=BB7_15 Depth=1
	v_cmp_ge_i32_e32 vcc, v0, v3
	s_mov_b64 s[4:5], -1
	s_and_saveexec_b64 s[56:57], vcc
	s_cbranch_execz .LBB7_230
; %bb.225:                              ;   in Loop: Header=BB7_15 Depth=1
	v_cmp_eq_u32_e32 vcc, v0, v3
	s_mov_b64 s[4:5], 0
	s_and_saveexec_b64 s[58:59], vcc
	s_cbranch_execz .LBB7_229
; %bb.226:                              ;   in Loop: Header=BB7_15 Depth=1
	v_mov_b32_e32 v0, 0x9860
	v_lshl_add_u32 v1, v6, 3, v0
	buffer_load_dword v0, v1, s[0:3], 0 offen
	s_nop 0
	buffer_load_dword v1, v1, s[0:3], 0 offen offset:4
	s_mov_b32 s4, 0
	s_mov_b32 s5, 2
	s_waitcnt vmcnt(0)
	v_cmp_gt_u64_e32 vcc, s[4:5], v[0:1]
	s_mov_b64 s[4:5], 0
	s_and_saveexec_b64 s[60:61], vcc
; %bb.227:                              ;   in Loop: Header=BB7_15 Depth=1
	v_lshrrev_b32_e32 v3, 1, v0
	v_and_b32_e32 v0, 1, v0
	v_cmp_eq_u32_e32 vcc, v3, v1
	v_cmp_eq_u32_e64 s[4:5], v0, v1
	s_and_b64 s[4:5], vcc, s[4:5]
	s_and_b64 s[4:5], s[4:5], exec
; %bb.228:                              ;   in Loop: Header=BB7_15 Depth=1
	s_or_b64 exec, exec, s[60:61]
	s_mov_b32 s33, 0x282800
	buffer_load_dword v0, off, s[0:3], s33  ; 4-byte Folded Reload
	s_waitcnt vmcnt(0)
	v_cmp_lt_i32_e32 vcc, v18, v0
	s_or_b64 s[4:5], s[4:5], vcc
	s_and_b64 s[4:5], s[4:5], exec
.LBB7_229:                              ;   in Loop: Header=BB7_15 Depth=1
	s_or_b64 exec, exec, s[58:59]
	s_orn2_b64 s[4:5], s[4:5], exec
.LBB7_230:                              ;   in Loop: Header=BB7_15 Depth=1
	s_or_b64 exec, exec, s[56:57]
	s_and_saveexec_b64 s[56:57], s[4:5]
; %bb.231:                              ;   in Loop: Header=BB7_15 Depth=1
	v_mov_b32_e32 v2, 1
; %bb.232:                              ;   in Loop: Header=BB7_15 Depth=1
	s_or_b64 exec, exec, s[56:57]
	v_mov_b32_e32 v1, v2
.LBB7_233:                              ;   in Loop: Header=BB7_15 Depth=1
	s_or_b64 exec, exec, s[54:55]
	v_mov_b32_e32 v2, v1
.LBB7_234:                              ;   in Loop: Header=BB7_15 Depth=1
	s_or_b64 exec, exec, s[28:29]
	v_cmp_ne_u32_e32 vcc, -1, v2
	s_mov_b64 s[86:87], 0
	s_mov_b64 s[4:5], s[30:31]
	;; [unrolled: 1-line block ×12, first 2 shown]
	s_and_saveexec_b64 s[28:29], vcc
	s_xor_b64 s[28:29], exec, s[28:29]
	s_cbranch_execz .LBB7_254
; %bb.235:                              ;   in Loop: Header=BB7_15 Depth=1
	v_cmp_eq_u32_e32 vcc, 0, v2
	v_mov_b32_e32 v1, 0x9058
	v_mov_b32_e32 v2, 0x9058
	buffer_load_dword v0, v1, s[0:3], 0 offen
	v_readlane_b32 s56, v62, 32
	buffer_load_dword v1, v2, s[0:3], 0 offen offset:2056
	v_readlane_b32 s62, v62, 38
	v_readlane_b32 s63, v62, 39
	;; [unrolled: 1-line block ×7, first 2 shown]
	s_mov_b64 s[56:57], -1
	s_mov_b64 s[82:83], 0
	s_mov_b64 s[58:59], 0
	;; [unrolled: 1-line block ×4, first 2 shown]
	s_waitcnt vmcnt(0)
	v_cndmask_b32_e32 v5, v1, v0, vcc
	v_add_co_u32_e64 v0, s[4:5], s62, v19
	v_mov_b32_e32 v1, s63
	v_sub_u32_e32 v2, v5, v40
	v_addc_co_u32_e64 v1, s[4:5], v1, v20, s[4:5]
	v_cmp_lt_i32_e64 s[4:5], 0, v2
	global_store_dword v[0:1], v2, off
	s_and_saveexec_b64 s[54:55], s[4:5]
	s_cbranch_execz .LBB7_253
; %bb.236:                              ;   in Loop: Header=BB7_15 Depth=1
	v_readlane_b32 s56, v62, 32
	v_readlane_b32 s60, v62, 36
	;; [unrolled: 1-line block ×3, first 2 shown]
	v_mov_b32_e32 v1, s61
	v_add_co_u32_e64 v0, s[4:5], s60, v19
	v_addc_co_u32_e64 v1, s[4:5], v1, v20, s[4:5]
	global_load_dword v2, v[0:1], off
	v_readlane_b32 s58, v62, 34
	v_readlane_b32 s59, v62, 35
	;; [unrolled: 1-line block ×5, first 2 shown]
	s_mov_b64 s[58:59], -1
	s_mov_b64 s[62:63], 0
	s_mov_b64 s[66:67], 0
	;; [unrolled: 1-line block ×3, first 2 shown]
	s_waitcnt vmcnt(0)
	v_cmp_eq_u32_e64 s[4:5], -1, v2
	s_and_saveexec_b64 s[56:57], s[4:5]
	s_cbranch_execz .LBB7_252
; %bb.237:                              ;   in Loop: Header=BB7_15 Depth=1
	v_cmp_gt_i32_e64 s[4:5], v5, v40
	s_mov_b64 s[60:61], -1
	s_mov_b64 s[64:65], -1
	global_store_dword v[0:1], v16, off
	s_and_saveexec_b64 s[58:59], s[4:5]
	s_cbranch_execz .LBB7_251
; %bb.238:                              ;   in Loop: Header=BB7_15 Depth=1
	v_mov_b32_e32 v1, 0x9058
	v_mov_b32_e32 v2, 0x9860
	s_mov_b32 s33, 0x281a00
	v_add_u32_e32 v0, 8, v1
	v_add_u32_e32 v1, 8, v2
	buffer_load_dword v2, off, s[0:3], s33  ; 4-byte Folded Reload
	buffer_load_dword v3, off, s[0:3], s33 offset:4 ; 4-byte Folded Reload
	v_cndmask_b32_e32 v0, v1, v0, vcc
	v_lshl_add_u32 v6, v40, 3, v0
	v_mov_b32_e32 v1, 0
	s_mov_b64 s[60:61], 0
                                        ; implicit-def: $sgpr64_sgpr65
                                        ; implicit-def: $sgpr62_sgpr63
                                        ; implicit-def: $sgpr4_sgpr5
                                        ; implicit-def: $sgpr66_sgpr67
                                        ; implicit-def: $sgpr68_sgpr69
	s_waitcnt vmcnt(1)
	v_mov_b32_e32 v0, v2
	s_branch .LBB7_240
.LBB7_239:                              ;   in Loop: Header=BB7_240 Depth=2
	s_or_b64 exec, exec, s[72:73]
	s_xor_b64 s[72:73], s[74:75], -1
	s_and_b64 s[70:71], exec, s[70:71]
	s_or_b64 s[60:61], s[70:71], s[60:61]
	s_andn2_b64 s[4:5], s[4:5], exec
	s_and_b64 s[70:71], s[72:73], exec
	s_or_b64 s[4:5], s[4:5], s[70:71]
	s_andn2_b64 s[62:63], s[62:63], exec
	s_and_b64 s[70:71], s[68:69], exec
	;; [unrolled: 3-line block ×3, first 2 shown]
	s_or_b64 s[64:65], s[64:65], s[70:71]
	s_andn2_b64 exec, exec, s[60:61]
	s_cbranch_execz .LBB7_250
.LBB7_240:                              ;   Parent Loop BB7_15 Depth=1
                                        ; =>  This Inner Loop Header: Depth=2
	v_cmp_eq_u32_e32 vcc, 8, v1
	s_mov_b64 s[70:71], -1
	s_mov_b64 s[76:77], -1
	s_and_saveexec_b64 s[72:73], vcc
	s_cbranch_execz .LBB7_248
; %bb.241:                              ;   in Loop: Header=BB7_240 Depth=2
	s_mov_b64 s[76:77], exec
	v_mbcnt_lo_u32_b32 v1, s76, 0
	v_mbcnt_hi_u32_b32 v1, s77, v1
	v_cmp_eq_u32_e32 vcc, 0, v1
                                        ; implicit-def: $vgpr2
	s_and_saveexec_b64 s[74:75], vcc
	s_cbranch_execz .LBB7_243
; %bb.242:                              ;   in Loop: Header=BB7_240 Depth=2
	s_bcnt1_i32_b64 s33, s[76:77]
	v_readlane_b32 s76, v62, 26
	v_mov_b32_e32 v2, s33
	v_readlane_b32 s77, v62, 27
	v_readlane_b32 s78, v62, 28
	;; [unrolled: 1-line block ×3, first 2 shown]
	s_nop 2
	global_atomic_add v2, v16, v2, s[76:77] glc
.LBB7_243:                              ;   in Loop: Header=BB7_240 Depth=2
	s_or_b64 exec, exec, s[74:75]
	s_waitcnt vmcnt(0)
	v_readfirstlane_b32 s33, v2
	v_add_u32_e32 v2, s33, v1
	v_readlane_b32 s33, v62, 15
	v_cmp_gt_i32_e32 vcc, s33, v2
	s_mov_b64 s[76:77], 0
	s_mov_b64 s[80:81], -1
	s_mov_b64 s[78:79], 0
	s_and_saveexec_b64 s[74:75], vcc
	s_cbranch_execz .LBB7_247
; %bb.244:                              ;   in Loop: Header=BB7_240 Depth=2
	v_ashrrev_i32_e32 v3, 31, v2
	v_lshlrev_b64 v[3:4], 2, v[2:3]
	v_readlane_b32 s76, v62, 32
	v_readlane_b32 s80, v62, 36
	;; [unrolled: 1-line block ×3, first 2 shown]
	v_mov_b32_e32 v1, s81
	v_add_co_u32_e32 v3, vcc, s80, v3
	v_addc_co_u32_e32 v4, vcc, v1, v4, vcc
	global_load_dword v1, v[3:4], off
	v_readlane_b32 s78, v62, 34
	v_readlane_b32 s79, v62, 35
	;; [unrolled: 1-line block ×3, first 2 shown]
	s_mov_b64 s[78:79], 0
	v_readlane_b32 s82, v62, 38
	v_readlane_b32 s83, v62, 39
	s_waitcnt vmcnt(0)
	v_cmp_eq_u32_e32 vcc, -1, v1
	s_and_saveexec_b64 s[76:77], vcc
	s_cbranch_execz .LBB7_246
; %bb.245:                              ;   in Loop: Header=BB7_240 Depth=2
	v_ashrrev_i32_e32 v1, 31, v0
	v_lshlrev_b64 v[0:1], 2, v[0:1]
	v_readlane_b32 s80, v62, 32
	v_readlane_b32 s84, v62, 36
	;; [unrolled: 1-line block ×3, first 2 shown]
	v_add_co_u32_e32 v0, vcc, s84, v0
	v_mov_b32_e32 v7, s85
	v_addc_co_u32_e32 v1, vcc, v7, v1, vcc
	s_mov_b64 s[78:79], exec
	v_readlane_b32 s81, v62, 33
	v_readlane_b32 s82, v62, 34
	;; [unrolled: 1-line block ×5, first 2 shown]
	global_store_dword v[0:1], v2, off
	global_store_dword v[3:4], v16, off
.LBB7_246:                              ;   in Loop: Header=BB7_240 Depth=2
	s_or_b64 exec, exec, s[76:77]
	s_xor_b64 s[80:81], exec, -1
	s_and_b64 s[76:77], s[78:79], exec
	s_mov_b64 s[78:79], exec
.LBB7_247:                              ;   in Loop: Header=BB7_240 Depth=2
	s_or_b64 exec, exec, s[74:75]
	s_andn2_b64 s[68:69], s[68:69], exec
	s_and_b64 s[74:75], s[80:81], exec
	s_or_b64 s[68:69], s[68:69], s[74:75]
	s_andn2_b64 s[66:67], s[66:67], exec
	s_and_b64 s[74:75], s[78:79], exec
	v_mov_b32_e32 v1, 0
	s_or_b64 s[66:67], s[66:67], s[74:75]
	s_orn2_b64 s[76:77], s[76:77], exec
	v_mov_b32_e32 v0, v2
.LBB7_248:                              ;   in Loop: Header=BB7_240 Depth=2
	s_or_b64 exec, exec, s[72:73]
	s_mov_b64 s[74:75], -1
	s_and_saveexec_b64 s[72:73], s[76:77]
	s_cbranch_execz .LBB7_239
; %bb.249:                              ;   in Loop: Header=BB7_240 Depth=2
	buffer_load_dword v2, v6, s[0:3], 0 offen
	buffer_load_dword v3, v6, s[0:3], 0 offen offset:4
	v_lshl_add_u32 v7, v0, 3, v1
	v_ashrrev_i32_e32 v8, 31, v7
	v_lshlrev_b64 v[7:8], 3, v[7:8]
	v_readlane_b32 s76, v62, 32
	v_readlane_b32 s78, v62, 34
	;; [unrolled: 1-line block ×3, first 2 shown]
	v_add_u32_e32 v4, 1, v1
	v_add_co_u32_e32 v7, vcc, s78, v7
	v_mov_b32_e32 v1, s79
	v_addc_co_u32_e32 v8, vcc, v1, v8, vcc
	v_add_u32_e32 v40, 1, v40
	v_cmp_ge_i32_e32 vcc, v40, v5
	v_add_u32_e32 v6, 8, v6
	s_xor_b64 s[74:75], exec, -1
	s_orn2_b64 s[70:71], vcc, exec
	v_mov_b32_e32 v1, v4
	v_readlane_b32 s77, v62, 33
	v_readlane_b32 s80, v62, 36
	;; [unrolled: 1-line block ×5, first 2 shown]
	s_waitcnt vmcnt(0)
	global_store_dwordx2 v[7:8], v[2:3], off
	s_branch .LBB7_239
.LBB7_250:                              ;   in Loop: Header=BB7_15 Depth=1
	s_or_b64 exec, exec, s[60:61]
	s_and_b64 s[66:67], s[64:65], exec
	s_and_b64 s[62:63], s[62:63], exec
	s_xor_b64 s[64:65], exec, -1
	s_orn2_b64 s[60:61], s[4:5], exec
.LBB7_251:                              ;   in Loop: Header=BB7_15 Depth=1
	s_or_b64 exec, exec, s[58:59]
	s_and_b64 s[68:69], s[66:67], exec
	s_and_b64 s[66:67], s[62:63], exec
	s_orn2_b64 s[58:59], s[64:65], exec
	s_and_b64 s[62:63], s[60:61], exec
.LBB7_252:                              ;   in Loop: Header=BB7_15 Depth=1
	s_or_b64 exec, exec, s[56:57]
	s_and_b64 s[64:65], s[68:69], exec
	s_and_b64 s[60:61], s[66:67], exec
	;; [unrolled: 1-line block ×3, first 2 shown]
	s_xor_b64 s[56:57], exec, -1
	s_and_b64 s[82:83], s[62:63], exec
.LBB7_253:                              ;   in Loop: Header=BB7_15 Depth=1
	s_or_b64 exec, exec, s[54:55]
	s_andn2_b64 s[80:81], s[50:51], exec
	s_and_b64 s[78:79], s[64:65], exec
	s_and_b64 s[76:77], s[60:61], exec
	;; [unrolled: 1-line block ×4, first 2 shown]
	s_andn2_b64 s[70:71], s[48:49], exec
	s_andn2_b64 s[68:69], s[6:7], exec
	;; [unrolled: 1-line block ×10, first 2 shown]
	s_and_b64 s[86:87], s[82:83], exec
                                        ; implicit-def: $vgpr19_vgpr20
.LBB7_254:                              ;   in Loop: Header=BB7_15 Depth=1
	s_andn2_saveexec_b64 s[28:29], s[28:29]
	s_cbranch_execz .LBB7_256
; %bb.255:                              ;   in Loop: Header=BB7_15 Depth=1
	v_readlane_b32 s92, v62, 32
	v_readlane_b32 s98, v62, 38
	v_readlane_b32 s99, v62, 39
	v_mov_b32_e32 v1, s99
	v_add_co_u32_e32 v0, vcc, s98, v19
	v_addc_co_u32_e32 v1, vcc, v1, v20, vcc
	s_or_b64 s[86:87], s[86:87], exec
	v_readlane_b32 s93, v62, 33
	v_readlane_b32 s94, v62, 34
	;; [unrolled: 1-line block ×5, first 2 shown]
	global_store_dword v[0:1], v16, off
.LBB7_256:                              ;   in Loop: Header=BB7_15 Depth=1
	s_or_b64 exec, exec, s[28:29]
	s_mov_b64 s[28:29], -1
	s_mov_b64 s[82:83], 0
	s_and_saveexec_b64 s[84:85], s[86:87]
	s_cbranch_execz .LBB7_2
; %bb.257:                              ;   in Loop: Header=BB7_15 Depth=1
	s_mov_b32 s29, 0x281a00
	buffer_load_dword v0, off, s[0:3], s29  ; 4-byte Folded Reload
	buffer_load_dword v1, off, s[0:3], s29 offset:4 ; 4-byte Folded Reload
	v_readlane_b32 s28, v62, 12
	s_andn2_b64 s[80:81], s[80:81], exec
	s_andn2_b64 s[78:79], s[78:79], exec
	;; [unrolled: 1-line block ×15, first 2 shown]
	s_mov_b64 s[82:83], exec
	s_waitcnt vmcnt(0)
	v_mov_b32_e32 v1, v0
	v_add_u32_e32 v1, s28, v1
	v_mov_b32_e32 v0, v1
	buffer_store_dword v0, off, s[0:3], s29 ; 4-byte Folded Spill
	s_nop 0
	buffer_store_dword v1, off, s[0:3], s29 offset:4 ; 4-byte Folded Spill
	v_readlane_b32 s28, v62, 14
	v_cmp_le_i32_e32 vcc, s28, v1
	s_orn2_b64 s[28:29], vcc, exec
	s_branch .LBB7_2
.LBB7_258:
	v_readlane_b32 s4, v62, 16
	v_readlane_b32 s5, v62, 17
	s_or_b64 exec, exec, s[4:5]
	v_readlane_b32 s4, v62, 48
	v_readlane_b32 s5, v62, 49
	s_mov_b64 s[6:7], -1
	s_xor_b64 s[4:5], s[4:5], -1
	s_mov_b64 s[8:9], 0
	s_mov_b64 s[10:11], 0
	;; [unrolled: 1-line block ×28, first 2 shown]
	s_mov_b64 s[26:27], exec
	v_readlane_b32 s20, v61, 38
	v_readlane_b32 s21, v61, 39
	s_and_b64 s[20:21], s[26:27], s[20:21]
	s_mov_b64 exec, s[20:21]
	s_cbranch_execz .LBB7_318
; %bb.259:
	s_mov_b64 s[10:11], -1
	s_mov_b64 s[20:21], 0
	s_mov_b64 s[34:35], 0
	;; [unrolled: 1-line block ×7, first 2 shown]
	s_mov_b64 s[28:29], exec
	v_readlane_b32 s6, v61, 36
	v_readlane_b32 s7, v61, 37
	s_and_b64 s[6:7], s[28:29], s[6:7]
	s_mov_b64 exec, s[6:7]
	s_cbranch_execz .LBB7_317
; %bb.260:
	s_mov_b64 s[8:9], -1
	s_mov_b64 s[6:7], 0
	s_mov_b64 s[34:35], exec
	v_readlane_b32 s10, v61, 34
	v_readlane_b32 s11, v61, 35
	s_and_b64 s[10:11], s[34:35], s[10:11]
	s_mov_b64 exec, s[10:11]
	s_cbranch_execz .LBB7_316
; %bb.261:
	s_mov_b64 s[10:11], -1
	s_mov_b64 s[36:37], exec
	v_readlane_b32 s8, v61, 32
	v_readlane_b32 s9, v61, 33
	s_and_b64 s[8:9], s[36:37], s[8:9]
	s_mov_b64 exec, s[8:9]
	s_cbranch_execz .LBB7_315
; %bb.262:
	s_mov_b64 s[8:9], -1
	;; [unrolled: 8-line block ×10, first 2 shown]
	s_mov_b64 s[54:55], exec
	v_readlane_b32 s10, v61, 14
	v_readlane_b32 s11, v61, 15
	s_and_b64 s[10:11], s[54:55], s[10:11]
	s_mov_b64 exec, s[10:11]
	s_cbranch_execz .LBB7_306
; %bb.271:
	s_or_saveexec_b64 s[100:101], -1
	s_mov_b64 exec, s[100:101]
	s_mov_b64 s[10:11], -1
	s_mov_b64 s[56:57], exec
	v_readlane_b32 s8, v61, 12
	v_readlane_b32 s9, v61, 13
	s_and_b64 s[8:9], s[56:57], s[8:9]
	s_mov_b64 exec, s[8:9]
	s_cbranch_execz .LBB7_305
; %bb.272:
	s_mov_b64 s[8:9], -1
	s_mov_b64 s[58:59], exec
	v_readlane_b32 s10, v61, 10
	v_readlane_b32 s11, v61, 11
	s_and_b64 s[10:11], s[58:59], s[10:11]
	s_mov_b64 exec, s[10:11]
	s_cbranch_execz .LBB7_304
; %bb.273:
	;; [unrolled: 8-line block ×7, first 2 shown]
	s_mov_b64 s[8:9], -1
	s_mov_b64 s[70:71], exec
	s_or_saveexec_b64 s[100:101], -1
	v_mov_b32_e32 v61, v62
	s_mov_b64 exec, s[100:101]
	v_readlane_b32 s10, v61, 62
	v_readlane_b32 s11, v61, 63
	s_and_b64 s[10:11], s[70:71], s[10:11]
	s_mov_b64 exec, s[10:11]
	s_cbranch_execz .LBB7_298
; %bb.279:
	s_mov_b64 s[10:11], -1
	s_mov_b64 s[72:73], exec
	s_or_saveexec_b64 s[100:101], -1
	v_mov_b32_e32 v61, v62
	s_mov_b64 exec, s[100:101]
	v_readlane_b32 s8, v61, 60
	v_readlane_b32 s9, v61, 61
	s_and_b64 s[8:9], s[72:73], s[8:9]
	s_mov_b64 exec, s[8:9]
	s_cbranch_execz .LBB7_297
; %bb.280:
	;; [unrolled: 11-line block ×6, first 2 shown]
	s_mov_b64 s[8:9], -1
	s_mov_b64 s[10:11], 0
	s_mov_b64 s[82:83], exec
	s_or_saveexec_b64 s[100:101], -1
	v_mov_b32_e32 v61, v62
	s_mov_b64 exec, s[100:101]
	v_readlane_b32 s12, v61, 50
	v_readlane_b32 s13, v61, 51
	s_and_b64 s[12:13], s[82:83], s[12:13]
	s_mov_b64 exec, s[12:13]
	s_cbranch_execz .LBB7_292
; %bb.285:
	s_mov_b64 s[6:7], -1
	s_mov_b64 s[8:9], 0
	s_and_saveexec_b64 s[10:11], s[90:91]
	s_xor_b64 s[84:85], exec, s[10:11]
	s_cbranch_execz .LBB7_291
; %bb.286:
	s_and_saveexec_b64 s[6:7], s[4:5]
	s_xor_b64 s[86:87], exec, s[6:7]
	s_cbranch_execz .LBB7_288
; %bb.287:
	s_mov_b64 s[4:5], s[88:89]
	s_add_u32 s8, s4, 0x80
	s_addc_u32 s9, s5, 0
	s_getpc_b64 s[4:5]
	s_add_u32 s4, s4, .str.15@rel32@lo+4
	s_addc_u32 s5, s5, .str.15@rel32@hi+12
	s_getpc_b64 s[6:7]
	s_add_u32 s6, s6, .str.16@rel32@lo+4
	s_addc_u32 s7, s7, .str.16@rel32@hi+12
	s_getpc_b64 s[10:11]
	s_add_u32 s10, s10, __PRETTY_FUNCTION__._ZN3sop10minatoIsopEPKjiP7VecsMemIjLi8192EE@rel32@lo+4
	s_addc_u32 s11, s11, __PRETTY_FUNCTION__._ZN3sop10minatoIsopEPKjiP7VecsMemIjLi8192EE@rel32@hi+12
	s_getpc_b64 s[12:13]
	s_add_u32 s12, s12, __assert_fail@rel32@lo+4
	s_addc_u32 s13, s13, __assert_fail@rel32@hi+12
	v_mov_b32_e32 v0, s4
	v_mov_b32_e32 v1, s5
	s_waitcnt vmcnt(0)
	v_mov_b32_e32 v2, s6
	v_mov_b32_e32 v3, s7
	;; [unrolled: 1-line block ×5, first 2 shown]
	s_swappc_b64 s[30:31], s[12:13]
.LBB7_288:
	s_andn2_saveexec_b64 s[86:87], s[86:87]
	s_cbranch_execz .LBB7_290
; %bb.289:
	s_mov_b64 s[4:5], s[88:89]
	s_add_u32 s8, s4, 0x80
	s_addc_u32 s9, s5, 0
	s_getpc_b64 s[4:5]
	s_add_u32 s4, s4, .str.15@rel32@lo+4
	s_addc_u32 s5, s5, .str.15@rel32@hi+12
	s_getpc_b64 s[6:7]
	s_add_u32 s6, s6, .str.16@rel32@lo+4
	s_addc_u32 s7, s7, .str.16@rel32@hi+12
	s_getpc_b64 s[10:11]
	s_add_u32 s10, s10, __PRETTY_FUNCTION__._ZN3sop10minatoIsopEPKjiP7VecsMemIjLi8192EE@rel32@lo+4
	s_addc_u32 s11, s11, __PRETTY_FUNCTION__._ZN3sop10minatoIsopEPKjiP7VecsMemIjLi8192EE@rel32@hi+12
	s_getpc_b64 s[12:13]
	s_add_u32 s12, s12, __assert_fail@rel32@lo+4
	s_addc_u32 s13, s13, __assert_fail@rel32@hi+12
	v_mov_b32_e32 v0, s4
	v_mov_b32_e32 v1, s5
	s_waitcnt vmcnt(0)
	v_mov_b32_e32 v2, s6
	v_mov_b32_e32 v3, s7
	;; [unrolled: 1-line block ×5, first 2 shown]
	s_swappc_b64 s[30:31], s[12:13]
.LBB7_290:
	s_or_b64 exec, exec, s[86:87]
	s_mov_b64 s[8:9], exec
	s_xor_b64 s[6:7], exec, -1
.LBB7_291:
	s_or_b64 exec, exec, s[84:85]
	s_and_b64 s[10:11], s[8:9], exec
	s_xor_b64 s[8:9], exec, -1
	s_and_b64 s[6:7], s[6:7], exec
.LBB7_292:
	s_or_b64 exec, exec, s[82:83]
	s_and_b64 s[12:13], s[10:11], exec
	s_xor_b64 s[10:11], exec, -1
	s_and_b64 s[16:17], s[8:9], exec
	s_and_b64 s[6:7], s[6:7], exec
.LBB7_293:
	s_or_b64 exec, exec, s[80:81]
	s_and_b64 s[14:15], s[12:13], exec
	s_xor_b64 s[8:9], exec, -1
	s_and_b64 s[12:13], s[10:11], exec
	s_and_b64 s[16:17], s[16:17], exec
	;; [unrolled: 1-line block ×3, first 2 shown]
.LBB7_294:
	s_or_b64 exec, exec, s[78:79]
	s_and_b64 s[20:21], s[14:15], exec
	s_xor_b64 s[10:11], exec, -1
	s_and_b64 s[14:15], s[8:9], exec
	s_and_b64 s[12:13], s[12:13], exec
	;; [unrolled: 1-line block ×4, first 2 shown]
.LBB7_295:
	s_or_b64 exec, exec, s[76:77]
	s_and_b64 s[22:23], s[20:21], exec
	s_xor_b64 s[8:9], exec, -1
	s_and_b64 s[16:17], s[10:11], exec
	s_and_b64 s[14:15], s[14:15], exec
	;; [unrolled: 1-line block ×5, first 2 shown]
.LBB7_296:
	s_or_b64 exec, exec, s[74:75]
	s_and_b64 s[22:23], s[22:23], exec
	s_xor_b64 s[10:11], exec, -1
	s_and_b64 s[18:19], s[8:9], exec
	s_and_b64 s[16:17], s[16:17], exec
	;; [unrolled: 1-line block ×6, first 2 shown]
.LBB7_297:
	s_or_b64 exec, exec, s[72:73]
	s_and_b64 s[24:25], s[22:23], exec
	s_xor_b64 s[8:9], exec, -1
	s_and_b64 s[22:23], s[10:11], exec
	s_and_b64 s[18:19], s[18:19], exec
	;; [unrolled: 1-line block ×7, first 2 shown]
.LBB7_298:
	s_or_b64 exec, exec, s[70:71]
	s_and_b64 s[30:31], s[24:25], exec
	s_xor_b64 s[10:11], exec, -1
	s_and_b64 s[24:25], s[8:9], exec
	s_and_b64 s[22:23], s[22:23], exec
	;; [unrolled: 1-line block ×8, first 2 shown]
.LBB7_299:
	s_or_b64 exec, exec, s[68:69]
	s_and_b64 s[68:69], s[30:31], exec
	s_xor_b64 s[8:9], exec, -1
	s_and_b64 s[30:31], s[10:11], exec
	s_and_b64 s[24:25], s[24:25], exec
	;; [unrolled: 1-line block ×9, first 2 shown]
.LBB7_300:
	s_or_b64 exec, exec, s[66:67]
	s_and_b64 s[66:67], s[68:69], exec
	s_xor_b64 s[10:11], exec, -1
	s_and_b64 s[70:71], s[8:9], exec
	s_and_b64 s[30:31], s[30:31], exec
	;; [unrolled: 1-line block ×10, first 2 shown]
.LBB7_301:
	s_or_b64 exec, exec, s[64:65]
	s_and_b64 s[68:69], s[66:67], exec
	s_xor_b64 s[8:9], exec, -1
	s_and_b64 s[66:67], s[10:11], exec
	s_and_b64 s[64:65], s[70:71], exec
	;; [unrolled: 1-line block ×11, first 2 shown]
.LBB7_302:
	s_or_b64 exec, exec, s[62:63]
	s_and_b64 s[68:69], s[68:69], exec
	s_xor_b64 s[10:11], exec, -1
	s_and_b64 s[62:63], s[8:9], exec
	s_and_b64 s[66:67], s[66:67], exec
	;; [unrolled: 1-line block ×12, first 2 shown]
.LBB7_303:
	s_or_b64 exec, exec, s[60:61]
	s_and_b64 s[60:61], s[68:69], exec
	s_xor_b64 s[8:9], exec, -1
	s_and_b64 s[68:69], s[10:11], exec
	s_and_b64 s[62:63], s[62:63], exec
	;; [unrolled: 1-line block ×13, first 2 shown]
.LBB7_304:
	s_or_b64 exec, exec, s[58:59]
	s_and_b64 s[70:71], s[60:61], exec
	s_xor_b64 s[10:11], exec, -1
	s_and_b64 s[60:61], s[8:9], exec
	s_and_b64 s[58:59], s[68:69], exec
	;; [unrolled: 1-line block ×14, first 2 shown]
.LBB7_305:
	s_or_b64 exec, exec, s[56:57]
	s_and_b64 s[70:71], s[70:71], exec
	s_xor_b64 s[8:9], exec, -1
	s_and_b64 s[64:65], s[10:11], exec
	s_and_b64 s[60:61], s[60:61], exec
	;; [unrolled: 1-line block ×15, first 2 shown]
	s_or_saveexec_b64 s[100:101], -1
	s_mov_b64 exec, s[100:101]
.LBB7_306:
	s_or_b64 exec, exec, s[54:55]
	s_and_b64 s[68:69], s[70:71], exec
	s_xor_b64 s[10:11], exec, -1
	s_and_b64 s[70:71], s[8:9], exec
	s_and_b64 s[64:65], s[64:65], exec
	;; [unrolled: 1-line block ×16, first 2 shown]
.LBB7_307:
	s_or_b64 exec, exec, s[52:53]
	s_and_b64 s[68:69], s[68:69], exec
	s_xor_b64 s[8:9], exec, -1
	s_and_b64 s[66:67], s[10:11], exec
	s_and_b64 s[70:71], s[70:71], exec
	;; [unrolled: 1-line block ×17, first 2 shown]
.LBB7_308:
	s_or_b64 exec, exec, s[50:51]
	s_and_b64 s[72:73], s[68:69], exec
	s_xor_b64 s[10:11], exec, -1
	s_and_b64 s[68:69], s[8:9], exec
	s_and_b64 s[66:67], s[66:67], exec
	;; [unrolled: 1-line block ×18, first 2 shown]
.LBB7_309:
	s_or_b64 exec, exec, s[48:49]
	s_and_b64 s[72:73], s[72:73], exec
	s_xor_b64 s[8:9], exec, -1
	s_and_b64 s[62:63], s[10:11], exec
	s_and_b64 s[70:71], s[68:69], exec
	;; [unrolled: 1-line block ×19, first 2 shown]
.LBB7_310:
	s_or_b64 exec, exec, s[46:47]
	s_and_b64 s[72:73], s[72:73], exec
	s_xor_b64 s[10:11], exec, -1
	s_and_b64 s[64:65], s[8:9], exec
	s_and_b64 s[62:63], s[62:63], exec
	;; [unrolled: 1-line block ×20, first 2 shown]
.LBB7_311:
	s_or_b64 exec, exec, s[44:45]
	s_and_b64 s[72:73], s[72:73], exec
	s_xor_b64 s[8:9], exec, -1
	s_and_b64 s[68:69], s[10:11], exec
	s_and_b64 s[64:65], s[64:65], exec
	;; [unrolled: 1-line block ×21, first 2 shown]
.LBB7_312:
	s_or_b64 exec, exec, s[42:43]
	s_and_b64 s[72:73], s[72:73], exec
	s_xor_b64 s[10:11], exec, -1
	s_and_b64 s[70:71], s[8:9], exec
	s_and_b64 s[68:69], s[68:69], exec
	;; [unrolled: 1-line block ×22, first 2 shown]
.LBB7_313:
	s_or_b64 exec, exec, s[40:41]
	s_and_b64 s[72:73], s[72:73], exec
	s_xor_b64 s[8:9], exec, -1
	s_and_b64 s[62:63], s[10:11], exec
	s_and_b64 s[60:61], s[70:71], exec
	;; [unrolled: 1-line block ×23, first 2 shown]
.LBB7_314:
	s_or_b64 exec, exec, s[38:39]
	s_and_b64 s[72:73], s[72:73], exec
	s_xor_b64 s[10:11], exec, -1
	s_and_b64 s[64:65], s[8:9], exec
	s_and_b64 s[62:63], s[62:63], exec
	;; [unrolled: 1-line block ×24, first 2 shown]
.LBB7_315:
	s_or_b64 exec, exec, s[36:37]
	s_and_b64 s[70:71], s[72:73], exec
	s_xor_b64 s[8:9], exec, -1
	s_and_b64 s[74:75], s[10:11], exec
	s_and_b64 s[64:65], s[64:65], exec
	;; [unrolled: 1-line block ×25, first 2 shown]
.LBB7_316:
	s_or_b64 exec, exec, s[34:35]
	s_and_b64 s[72:73], s[70:71], exec
	s_xor_b64 s[10:11], exec, -1
	s_and_b64 s[70:71], s[8:9], exec
	s_and_b64 s[66:67], s[74:75], exec
	;; [unrolled: 1-line block ×26, first 2 shown]
.LBB7_317:
	s_or_b64 exec, exec, s[28:29]
	s_and_b64 s[28:29], s[72:73], exec
	s_xor_b64 s[6:7], exec, -1
	s_and_b64 s[80:81], s[10:11], exec
	s_and_b64 s[78:79], s[70:71], exec
	;; [unrolled: 1-line block ×27, first 2 shown]
.LBB7_318:
	s_or_b64 exec, exec, s[26:27]
	s_and_b64 s[26:27], s[28:29], exec
	s_and_b64 s[28:29], s[6:7], exec
	;; [unrolled: 1-line block ×28, first 2 shown]
	s_orn2_b64 s[6:7], s[8:9], exec
.LBB7_319:
	v_readlane_b32 s8, v62, 2
	v_readlane_b32 s9, v62, 3
	s_or_b64 exec, exec, s[8:9]
	s_and_saveexec_b64 s[8:9], s[6:7]
	s_or_b64 exec, exec, s[8:9]
	s_and_saveexec_b64 s[6:7], s[4:5]
	s_xor_b64 s[84:85], exec, s[6:7]
	s_cbranch_execnz .LBB7_353
; %bb.320:
	s_or_b64 exec, exec, s[84:85]
	s_and_saveexec_b64 s[4:5], s[82:83]
	s_xor_b64 s[82:83], exec, s[4:5]
	s_cbranch_execnz .LBB7_354
.LBB7_321:
	s_or_b64 exec, exec, s[82:83]
	s_and_saveexec_b64 s[4:5], s[80:81]
	s_xor_b64 s[80:81], exec, s[4:5]
	s_cbranch_execnz .LBB7_355
.LBB7_322:
	s_or_b64 exec, exec, s[80:81]
	s_and_saveexec_b64 s[4:5], s[78:79]
	s_xor_b64 s[78:79], exec, s[4:5]
	s_cbranch_execnz .LBB7_356
.LBB7_323:
	s_or_b64 exec, exec, s[78:79]
	s_and_saveexec_b64 s[4:5], s[76:77]
	s_xor_b64 s[76:77], exec, s[4:5]
	s_cbranch_execnz .LBB7_357
.LBB7_324:
	s_or_b64 exec, exec, s[76:77]
	s_and_saveexec_b64 s[4:5], s[74:75]
	s_xor_b64 s[74:75], exec, s[4:5]
	s_cbranch_execnz .LBB7_358
.LBB7_325:
	s_or_b64 exec, exec, s[74:75]
	s_and_saveexec_b64 s[4:5], s[72:73]
	s_xor_b64 s[72:73], exec, s[4:5]
	s_cbranch_execnz .LBB7_359
.LBB7_326:
	s_or_b64 exec, exec, s[72:73]
	s_and_saveexec_b64 s[72:73], s[70:71]
	s_cbranch_execnz .LBB7_360
.LBB7_327:
	s_or_b64 exec, exec, s[72:73]
	s_and_saveexec_b64 s[4:5], s[66:67]
	s_xor_b64 s[66:67], exec, s[4:5]
	s_cbranch_execnz .LBB7_361
.LBB7_328:
	s_or_b64 exec, exec, s[66:67]
	s_and_saveexec_b64 s[66:67], s[68:69]
	s_cbranch_execnz .LBB7_362
.LBB7_329:
	s_or_b64 exec, exec, s[66:67]
	s_and_saveexec_b64 s[4:5], s[64:65]
	s_xor_b64 s[64:65], exec, s[4:5]
	s_cbranch_execnz .LBB7_723
.LBB7_330:
	s_or_b64 exec, exec, s[64:65]
	s_and_saveexec_b64 s[4:5], s[62:63]
	s_xor_b64 s[62:63], exec, s[4:5]
	s_cbranch_execnz .LBB7_724
.LBB7_331:
	s_or_b64 exec, exec, s[62:63]
	s_and_saveexec_b64 s[4:5], s[60:61]
	s_xor_b64 s[60:61], exec, s[4:5]
	s_cbranch_execz .LBB7_333
.LBB7_332:
	s_add_u32 s8, s88, 0x80
	s_addc_u32 s9, s89, 0
	s_getpc_b64 s[4:5]
	s_add_u32 s4, s4, .str.17@rel32@lo+4
	s_addc_u32 s5, s5, .str.17@rel32@hi+12
	s_getpc_b64 s[6:7]
	s_add_u32 s6, s6, .str.16@rel32@lo+4
	s_addc_u32 s7, s7, .str.16@rel32@hi+12
	s_getpc_b64 s[10:11]
	s_add_u32 s10, s10, __PRETTY_FUNCTION__._ZN3sop10minatoIsopEPKjiP7VecsMemIjLi8192EE@rel32@lo+4
	s_addc_u32 s11, s11, __PRETTY_FUNCTION__._ZN3sop10minatoIsopEPKjiP7VecsMemIjLi8192EE@rel32@hi+12
	s_getpc_b64 s[12:13]
	s_add_u32 s12, s12, __assert_fail@rel32@lo+4
	s_addc_u32 s13, s13, __assert_fail@rel32@hi+12
	v_mov_b32_e32 v0, s4
	v_mov_b32_e32 v1, s5
	s_waitcnt vmcnt(0)
	v_mov_b32_e32 v2, s6
	v_mov_b32_e32 v3, s7
	;; [unrolled: 1-line block ×5, first 2 shown]
	s_swappc_b64 s[30:31], s[12:13]
	s_or_b64 s[26:27], s[26:27], exec
.LBB7_333:
	s_or_b64 exec, exec, s[60:61]
	s_and_saveexec_b64 s[60:61], s[58:59]
	s_cbranch_execnz .LBB7_384
; %bb.334:
	s_or_b64 exec, exec, s[60:61]
	s_and_saveexec_b64 s[4:5], s[56:57]
	s_xor_b64 s[56:57], exec, s[4:5]
	s_cbranch_execnz .LBB7_753
.LBB7_335:
	s_or_b64 exec, exec, s[56:57]
	s_and_saveexec_b64 s[4:5], s[54:55]
	s_xor_b64 s[54:55], exec, s[4:5]
	s_cbranch_execz .LBB7_337
.LBB7_336:
	s_add_u32 s8, s88, 0x80
	s_addc_u32 s9, s89, 0
	s_getpc_b64 s[4:5]
	s_add_u32 s4, s4, .str.2@rel32@lo+4
	s_addc_u32 s5, s5, .str.2@rel32@hi+12
	s_getpc_b64 s[6:7]
	s_add_u32 s6, s6, .str.1@rel32@lo+4
	s_addc_u32 s7, s7, .str.1@rel32@hi+12
	s_getpc_b64 s[10:11]
	s_add_u32 s10, s10, __PRETTY_FUNCTION__._Z12evaluateSubgiPiPKiiiiS1_PKyPKjiPKN8subgUtil4SubgILi256EEE@rel32@lo+4
	s_addc_u32 s11, s11, __PRETTY_FUNCTION__._Z12evaluateSubgiPiPKiiiiS1_PKyPKjiPKN8subgUtil4SubgILi256EEE@rel32@hi+12
	s_getpc_b64 s[12:13]
	s_add_u32 s12, s12, __assert_fail@rel32@lo+4
	s_addc_u32 s13, s13, __assert_fail@rel32@hi+12
	v_mov_b32_e32 v0, s4
	v_mov_b32_e32 v1, s5
	s_waitcnt vmcnt(0)
	v_mov_b32_e32 v2, s6
	v_mov_b32_e32 v3, s7
	;; [unrolled: 1-line block ×5, first 2 shown]
	s_swappc_b64 s[30:31], s[12:13]
	s_or_b64 s[26:27], s[26:27], exec
.LBB7_337:
	s_or_b64 exec, exec, s[54:55]
	s_and_saveexec_b64 s[4:5], s[52:53]
	s_xor_b64 s[52:53], exec, s[4:5]
	s_cbranch_execz .LBB7_339
; %bb.338:
	s_add_u32 s8, s88, 0x80
	s_addc_u32 s9, s89, 0
	s_getpc_b64 s[4:5]
	s_add_u32 s4, s4, .str@rel32@lo+4
	s_addc_u32 s5, s5, .str@rel32@hi+12
	s_getpc_b64 s[6:7]
	s_add_u32 s6, s6, .str.1@rel32@lo+4
	s_addc_u32 s7, s7, .str.1@rel32@hi+12
	s_getpc_b64 s[10:11]
	s_add_u32 s10, s10, __PRETTY_FUNCTION__._Z12evaluateSubgiPiPKiiiiS1_PKyPKjiPKN8subgUtil4SubgILi256EEE@rel32@lo+4
	s_addc_u32 s11, s11, __PRETTY_FUNCTION__._Z12evaluateSubgiPiPKiiiiS1_PKyPKjiPKN8subgUtil4SubgILi256EEE@rel32@hi+12
	s_getpc_b64 s[12:13]
	s_add_u32 s12, s12, __assert_fail@rel32@lo+4
	s_addc_u32 s13, s13, __assert_fail@rel32@hi+12
	v_mov_b32_e32 v0, s4
	v_mov_b32_e32 v1, s5
	s_waitcnt vmcnt(0)
	v_mov_b32_e32 v2, s6
	v_mov_b32_e32 v3, s7
	;; [unrolled: 1-line block ×5, first 2 shown]
	s_swappc_b64 s[30:31], s[12:13]
	s_or_b64 s[26:27], s[26:27], exec
.LBB7_339:
	s_or_b64 exec, exec, s[52:53]
	s_and_saveexec_b64 s[4:5], s[50:51]
	s_xor_b64 s[50:51], exec, s[4:5]
	s_cbranch_execz .LBB7_341
; %bb.340:
	s_add_u32 s8, s88, 0x80
	s_addc_u32 s9, s89, 0
	s_getpc_b64 s[4:5]
	s_add_u32 s4, s4, .str.46@rel32@lo+4
	s_addc_u32 s5, s5, .str.46@rel32@hi+12
	s_getpc_b64 s[6:7]
	s_add_u32 s6, s6, .str.44@rel32@lo+4
	s_addc_u32 s7, s7, .str.44@rel32@hi+12
	s_getpc_b64 s[10:11]
	s_add_u32 s10, s10, __PRETTY_FUNCTION__._ZN8subgUtil18formAndNodeKeyFlagEiii@rel32@lo+4
	s_addc_u32 s11, s11, __PRETTY_FUNCTION__._ZN8subgUtil18formAndNodeKeyFlagEiii@rel32@hi+12
	s_getpc_b64 s[12:13]
	s_add_u32 s12, s12, __assert_fail@rel32@lo+4
	s_addc_u32 s13, s13, __assert_fail@rel32@hi+12
	v_mov_b32_e32 v0, s4
	v_mov_b32_e32 v1, s5
	s_waitcnt vmcnt(0)
	v_mov_b32_e32 v2, s6
	v_mov_b32_e32 v3, s7
	;; [unrolled: 1-line block ×5, first 2 shown]
	s_swappc_b64 s[30:31], s[12:13]
	s_or_b64 s[26:27], s[26:27], exec
.LBB7_341:
	s_or_b64 exec, exec, s[50:51]
	s_and_saveexec_b64 s[4:5], s[48:49]
	s_xor_b64 s[48:49], exec, s[4:5]
	s_cbranch_execz .LBB7_343
; %bb.342:
	s_add_u32 s8, s88, 0x80
	s_addc_u32 s9, s89, 0
	s_getpc_b64 s[4:5]
	s_add_u32 s4, s4, .str.32@rel32@lo+4
	s_addc_u32 s5, s5, .str.32@rel32@hi+12
	s_getpc_b64 s[6:7]
	s_add_u32 s6, s6, .str.31@rel32@lo+4
	s_addc_u32 s7, s7, .str.31@rel32@hi+12
	s_getpc_b64 s[10:11]
	s_add_u32 s10, s10, __PRETTY_FUNCTION__._ZN3sop9sopFactorEPjiiPKiiP7VecsMemIjLi8192EEPN8subgUtil4SubgILi256EEE@rel32@lo+4
	s_addc_u32 s11, s11, __PRETTY_FUNCTION__._ZN3sop9sopFactorEPjiiPKiiP7VecsMemIjLi8192EEPN8subgUtil4SubgILi256EEE@rel32@hi+12
	s_getpc_b64 s[12:13]
	s_add_u32 s12, s12, __assert_fail@rel32@lo+4
	s_addc_u32 s13, s13, __assert_fail@rel32@hi+12
	v_mov_b32_e32 v0, s4
	v_mov_b32_e32 v1, s5
	s_waitcnt vmcnt(0)
	v_mov_b32_e32 v2, s6
	v_mov_b32_e32 v3, s7
	;; [unrolled: 1-line block ×5, first 2 shown]
	s_swappc_b64 s[30:31], s[12:13]
	s_or_b64 s[26:27], s[26:27], exec
.LBB7_343:
	s_or_b64 exec, exec, s[48:49]
	s_and_saveexec_b64 s[48:49], s[46:47]
	s_cbranch_execnz .LBB7_406
; %bb.344:
	s_or_b64 exec, exec, s[48:49]
	s_and_saveexec_b64 s[4:5], s[44:45]
	s_xor_b64 s[44:45], exec, s[4:5]
	s_cbranch_execnz .LBB7_782
.LBB7_345:
	s_or_b64 exec, exec, s[44:45]
	s_and_saveexec_b64 s[44:45], s[42:43]
	s_cbranch_execnz .LBB7_783
.LBB7_346:
	s_or_b64 exec, exec, s[44:45]
	s_and_saveexec_b64 s[4:5], s[40:41]
	s_xor_b64 s[40:41], exec, s[4:5]
	s_cbranch_execnz .LBB7_784
.LBB7_347:
	s_or_b64 exec, exec, s[40:41]
	s_and_saveexec_b64 s[4:5], s[38:39]
	s_xor_b64 s[38:39], exec, s[4:5]
	s_cbranch_execnz .LBB7_785
.LBB7_348:
	s_or_b64 exec, exec, s[38:39]
	s_and_saveexec_b64 s[38:39], s[36:37]
	s_cbranch_execnz .LBB7_786
.LBB7_349:
	s_or_b64 exec, exec, s[38:39]
	s_and_saveexec_b64 s[4:5], s[34:35]
	s_xor_b64 s[34:35], exec, s[4:5]
	s_cbranch_execnz .LBB7_925
.LBB7_350:
	s_or_b64 exec, exec, s[34:35]
	s_and_saveexec_b64 s[34:35], s[28:29]
	s_cbranch_execnz .LBB7_926
.LBB7_351:
	s_or_b64 exec, exec, s[34:35]
	s_and_saveexec_b64 s[4:5], s[26:27]
	s_cbranch_execnz .LBB7_927
.LBB7_352:
	s_endpgm
.LBB7_353:
	s_add_u32 s8, s88, 0x80
	s_addc_u32 s9, s89, 0
	s_getpc_b64 s[4:5]
	s_add_u32 s4, s4, .str.11@rel32@lo+4
	s_addc_u32 s5, s5, .str.11@rel32@hi+12
	s_getpc_b64 s[6:7]
	s_add_u32 s6, s6, .str.1@rel32@lo+4
	s_addc_u32 s7, s7, .str.1@rel32@hi+12
	s_getpc_b64 s[10:11]
	s_add_u32 s10, s10, __PRETTY_FUNCTION__._Z8resynCutPKiS0_S0_S0_PKyPKjiS0_PyPiS6_S6_PjS0_S4_ii@rel32@lo+4
	s_addc_u32 s11, s11, __PRETTY_FUNCTION__._Z8resynCutPKiS0_S0_S0_PKyPKjiS0_PyPiS6_S6_PjS0_S4_ii@rel32@hi+12
	s_getpc_b64 s[12:13]
	s_add_u32 s12, s12, __assert_fail@rel32@lo+4
	s_addc_u32 s13, s13, __assert_fail@rel32@hi+12
	v_mov_b32_e32 v0, s4
	v_mov_b32_e32 v1, s5
	s_waitcnt vmcnt(0)
	v_mov_b32_e32 v2, s6
	v_mov_b32_e32 v3, s7
	;; [unrolled: 1-line block ×5, first 2 shown]
	s_swappc_b64 s[30:31], s[12:13]
	s_or_b64 s[26:27], s[26:27], exec
	s_or_b64 exec, exec, s[84:85]
	s_and_saveexec_b64 s[4:5], s[82:83]
	s_xor_b64 s[82:83], exec, s[4:5]
	s_cbranch_execz .LBB7_321
.LBB7_354:
	s_add_u32 s8, s88, 0x80
	s_addc_u32 s9, s89, 0
	s_getpc_b64 s[4:5]
	s_add_u32 s4, s4, .str.10@rel32@lo+4
	s_addc_u32 s5, s5, .str.10@rel32@hi+12
	s_getpc_b64 s[6:7]
	s_add_u32 s6, s6, .str.1@rel32@lo+4
	s_addc_u32 s7, s7, .str.1@rel32@hi+12
	s_getpc_b64 s[10:11]
	s_add_u32 s10, s10, __PRETTY_FUNCTION__._Z8resynCutPKiS0_S0_S0_PKyPKjiS0_PyPiS6_S6_PjS0_S4_ii@rel32@lo+4
	s_addc_u32 s11, s11, __PRETTY_FUNCTION__._Z8resynCutPKiS0_S0_S0_PKyPKjiS0_PyPiS6_S6_PjS0_S4_ii@rel32@hi+12
	s_getpc_b64 s[12:13]
	s_add_u32 s12, s12, __assert_fail@rel32@lo+4
	s_addc_u32 s13, s13, __assert_fail@rel32@hi+12
	v_mov_b32_e32 v0, s4
	v_mov_b32_e32 v1, s5
	s_waitcnt vmcnt(0)
	v_mov_b32_e32 v2, s6
	v_mov_b32_e32 v3, s7
	;; [unrolled: 1-line block ×5, first 2 shown]
	s_swappc_b64 s[30:31], s[12:13]
	s_or_b64 s[26:27], s[26:27], exec
	s_or_b64 exec, exec, s[82:83]
	s_and_saveexec_b64 s[4:5], s[80:81]
	s_xor_b64 s[80:81], exec, s[4:5]
	s_cbranch_execz .LBB7_322
.LBB7_355:
	s_add_u32 s8, s88, 0x80
	s_addc_u32 s9, s89, 0
	s_getpc_b64 s[4:5]
	s_add_u32 s4, s4, .str.9@rel32@lo+4
	s_addc_u32 s5, s5, .str.9@rel32@hi+12
	s_getpc_b64 s[6:7]
	s_add_u32 s6, s6, .str.1@rel32@lo+4
	s_addc_u32 s7, s7, .str.1@rel32@hi+12
	s_getpc_b64 s[10:11]
	s_add_u32 s10, s10, __PRETTY_FUNCTION__._Z8resynCutPKiS0_S0_S0_PKyPKjiS0_PyPiS6_S6_PjS0_S4_ii@rel32@lo+4
	s_addc_u32 s11, s11, __PRETTY_FUNCTION__._Z8resynCutPKiS0_S0_S0_PKyPKjiS0_PyPiS6_S6_PjS0_S4_ii@rel32@hi+12
	s_getpc_b64 s[12:13]
	s_add_u32 s12, s12, __assert_fail@rel32@lo+4
	s_addc_u32 s13, s13, __assert_fail@rel32@hi+12
	v_mov_b32_e32 v0, s4
	v_mov_b32_e32 v1, s5
	s_waitcnt vmcnt(0)
	v_mov_b32_e32 v2, s6
	v_mov_b32_e32 v3, s7
	;; [unrolled: 1-line block ×5, first 2 shown]
	s_swappc_b64 s[30:31], s[12:13]
	s_or_b64 s[26:27], s[26:27], exec
	s_or_b64 exec, exec, s[80:81]
	s_and_saveexec_b64 s[4:5], s[78:79]
	s_xor_b64 s[78:79], exec, s[4:5]
	s_cbranch_execz .LBB7_323
.LBB7_356:
	s_add_u32 s8, s88, 0x80
	s_addc_u32 s9, s89, 0
	s_getpc_b64 s[4:5]
	s_add_u32 s4, s4, .str.8@rel32@lo+4
	s_addc_u32 s5, s5, .str.8@rel32@hi+12
	s_getpc_b64 s[6:7]
	s_add_u32 s6, s6, .str.1@rel32@lo+4
	s_addc_u32 s7, s7, .str.1@rel32@hi+12
	s_getpc_b64 s[10:11]
	s_add_u32 s10, s10, __PRETTY_FUNCTION__._Z8resynCutPKiS0_S0_S0_PKyPKjiS0_PyPiS6_S6_PjS0_S4_ii@rel32@lo+4
	s_addc_u32 s11, s11, __PRETTY_FUNCTION__._Z8resynCutPKiS0_S0_S0_PKyPKjiS0_PyPiS6_S6_PjS0_S4_ii@rel32@hi+12
	s_getpc_b64 s[12:13]
	s_add_u32 s12, s12, __assert_fail@rel32@lo+4
	s_addc_u32 s13, s13, __assert_fail@rel32@hi+12
	v_mov_b32_e32 v0, s4
	v_mov_b32_e32 v1, s5
	s_waitcnt vmcnt(0)
	v_mov_b32_e32 v2, s6
	v_mov_b32_e32 v3, s7
	;; [unrolled: 1-line block ×5, first 2 shown]
	s_swappc_b64 s[30:31], s[12:13]
	s_or_b64 s[26:27], s[26:27], exec
	s_or_b64 exec, exec, s[78:79]
	s_and_saveexec_b64 s[4:5], s[76:77]
	s_xor_b64 s[76:77], exec, s[4:5]
	s_cbranch_execz .LBB7_324
.LBB7_357:
	s_add_u32 s8, s88, 0x80
	s_addc_u32 s9, s89, 0
	s_getpc_b64 s[4:5]
	s_add_u32 s4, s4, .str.2@rel32@lo+4
	s_addc_u32 s5, s5, .str.2@rel32@hi+12
	s_getpc_b64 s[6:7]
	s_add_u32 s6, s6, .str.1@rel32@lo+4
	s_addc_u32 s7, s7, .str.1@rel32@hi+12
	s_getpc_b64 s[10:11]
	s_add_u32 s10, s10, __PRETTY_FUNCTION__._Z12evaluateSubgiPiPKiiiiS1_PKyPKjiPKN8subgUtil4SubgILi256EEE@rel32@lo+4
	s_addc_u32 s11, s11, __PRETTY_FUNCTION__._Z12evaluateSubgiPiPKiiiiS1_PKyPKjiPKN8subgUtil4SubgILi256EEE@rel32@hi+12
	s_getpc_b64 s[12:13]
	s_add_u32 s12, s12, __assert_fail@rel32@lo+4
	s_addc_u32 s13, s13, __assert_fail@rel32@hi+12
	v_mov_b32_e32 v0, s4
	v_mov_b32_e32 v1, s5
	s_waitcnt vmcnt(0)
	v_mov_b32_e32 v2, s6
	v_mov_b32_e32 v3, s7
	;; [unrolled: 1-line block ×5, first 2 shown]
	s_swappc_b64 s[30:31], s[12:13]
	s_or_b64 s[26:27], s[26:27], exec
	s_or_b64 exec, exec, s[76:77]
	s_and_saveexec_b64 s[4:5], s[74:75]
	s_xor_b64 s[74:75], exec, s[4:5]
	s_cbranch_execz .LBB7_325
.LBB7_358:
	s_add_u32 s8, s88, 0x80
	s_addc_u32 s9, s89, 0
	s_getpc_b64 s[4:5]
	s_add_u32 s4, s4, .str@rel32@lo+4
	s_addc_u32 s5, s5, .str@rel32@hi+12
	s_getpc_b64 s[6:7]
	s_add_u32 s6, s6, .str.1@rel32@lo+4
	s_addc_u32 s7, s7, .str.1@rel32@hi+12
	s_getpc_b64 s[10:11]
	s_add_u32 s10, s10, __PRETTY_FUNCTION__._Z12evaluateSubgiPiPKiiiiS1_PKyPKjiPKN8subgUtil4SubgILi256EEE@rel32@lo+4
	s_addc_u32 s11, s11, __PRETTY_FUNCTION__._Z12evaluateSubgiPiPKiiiiS1_PKyPKjiPKN8subgUtil4SubgILi256EEE@rel32@hi+12
	s_getpc_b64 s[12:13]
	s_add_u32 s12, s12, __assert_fail@rel32@lo+4
	s_addc_u32 s13, s13, __assert_fail@rel32@hi+12
	v_mov_b32_e32 v0, s4
	v_mov_b32_e32 v1, s5
	s_waitcnt vmcnt(0)
	v_mov_b32_e32 v2, s6
	v_mov_b32_e32 v3, s7
	;; [unrolled: 1-line block ×5, first 2 shown]
	s_swappc_b64 s[30:31], s[12:13]
	s_or_b64 s[26:27], s[26:27], exec
	s_or_b64 exec, exec, s[74:75]
	s_and_saveexec_b64 s[4:5], s[72:73]
	s_xor_b64 s[72:73], exec, s[4:5]
	s_cbranch_execz .LBB7_326
.LBB7_359:
	s_add_u32 s8, s88, 0x80
	s_addc_u32 s9, s89, 0
	s_getpc_b64 s[4:5]
	s_add_u32 s4, s4, .str.46@rel32@lo+4
	s_addc_u32 s5, s5, .str.46@rel32@hi+12
	s_getpc_b64 s[6:7]
	s_add_u32 s6, s6, .str.44@rel32@lo+4
	s_addc_u32 s7, s7, .str.44@rel32@hi+12
	s_getpc_b64 s[10:11]
	s_add_u32 s10, s10, __PRETTY_FUNCTION__._ZN8subgUtil18formAndNodeKeyFlagEiii@rel32@lo+4
	s_addc_u32 s11, s11, __PRETTY_FUNCTION__._ZN8subgUtil18formAndNodeKeyFlagEiii@rel32@hi+12
	s_getpc_b64 s[12:13]
	s_add_u32 s12, s12, __assert_fail@rel32@lo+4
	s_addc_u32 s13, s13, __assert_fail@rel32@hi+12
	v_mov_b32_e32 v0, s4
	v_mov_b32_e32 v1, s5
	s_waitcnt vmcnt(0)
	v_mov_b32_e32 v2, s6
	v_mov_b32_e32 v3, s7
	;; [unrolled: 1-line block ×5, first 2 shown]
	s_swappc_b64 s[30:31], s[12:13]
	s_or_b64 s[26:27], s[26:27], exec
	s_or_b64 exec, exec, s[72:73]
	s_and_saveexec_b64 s[72:73], s[70:71]
	s_cbranch_execz .LBB7_327
.LBB7_360:
	s_add_u32 s8, s88, 0x80
	s_addc_u32 s9, s89, 0
	s_getpc_b64 s[4:5]
	s_add_u32 s4, s4, .str.32@rel32@lo+4
	s_addc_u32 s5, s5, .str.32@rel32@hi+12
	s_getpc_b64 s[6:7]
	s_add_u32 s6, s6, .str.31@rel32@lo+4
	s_addc_u32 s7, s7, .str.31@rel32@hi+12
	s_getpc_b64 s[10:11]
	s_add_u32 s10, s10, __PRETTY_FUNCTION__._ZN3sop9sopFactorEPjiiPKiiP7VecsMemIjLi8192EEPN8subgUtil4SubgILi256EEE@rel32@lo+4
	s_addc_u32 s11, s11, __PRETTY_FUNCTION__._ZN3sop9sopFactorEPjiiPKiiP7VecsMemIjLi8192EEPN8subgUtil4SubgILi256EEE@rel32@hi+12
	s_getpc_b64 s[12:13]
	s_add_u32 s12, s12, __assert_fail@rel32@lo+4
	s_addc_u32 s13, s13, __assert_fail@rel32@hi+12
	v_mov_b32_e32 v0, s4
	v_mov_b32_e32 v1, s5
	s_waitcnt vmcnt(0)
	v_mov_b32_e32 v2, s6
	v_mov_b32_e32 v3, s7
	;; [unrolled: 1-line block ×5, first 2 shown]
	s_swappc_b64 s[30:31], s[12:13]
	s_or_b64 s[26:27], s[26:27], exec
	s_or_b64 exec, exec, s[72:73]
	s_and_saveexec_b64 s[4:5], s[66:67]
	s_xor_b64 s[66:67], exec, s[4:5]
	s_cbranch_execz .LBB7_328
.LBB7_361:
	s_add_u32 s8, s88, 0x80
	s_addc_u32 s9, s89, 0
	s_getpc_b64 s[4:5]
	s_add_u32 s4, s4, .str.46@rel32@lo+4
	s_addc_u32 s5, s5, .str.46@rel32@hi+12
	s_getpc_b64 s[6:7]
	s_add_u32 s6, s6, .str.44@rel32@lo+4
	s_addc_u32 s7, s7, .str.44@rel32@hi+12
	s_getpc_b64 s[10:11]
	s_add_u32 s10, s10, __PRETTY_FUNCTION__._ZN8subgUtil18formAndNodeKeyFlagEiii@rel32@lo+4
	s_addc_u32 s11, s11, __PRETTY_FUNCTION__._ZN8subgUtil18formAndNodeKeyFlagEiii@rel32@hi+12
	s_getpc_b64 s[12:13]
	s_add_u32 s12, s12, __assert_fail@rel32@lo+4
	s_addc_u32 s13, s13, __assert_fail@rel32@hi+12
	v_mov_b32_e32 v0, s4
	v_mov_b32_e32 v1, s5
	s_waitcnt vmcnt(0)
	v_mov_b32_e32 v2, s6
	v_mov_b32_e32 v3, s7
	;; [unrolled: 1-line block ×5, first 2 shown]
	s_swappc_b64 s[30:31], s[12:13]
	s_or_b64 s[26:27], s[26:27], exec
	s_or_b64 exec, exec, s[66:67]
	s_and_saveexec_b64 s[66:67], s[68:69]
	s_cbranch_execz .LBB7_329
.LBB7_362:
	v_readlane_b32 s4, v62, 0
	v_readlane_b32 s5, v62, 1
	s_load_dwordx2 s[6:7], s[4:5], 0x50
	v_mbcnt_lo_u32_b32 v0, -1, 0
	v_mbcnt_hi_u32_b32 v30, -1, v0
	v_readfirstlane_b32 s4, v30
	v_mov_b32_e32 v5, 0
	v_mov_b32_e32 v6, 0
	v_cmp_eq_u32_e64 s[4:5], s4, v30
	s_and_saveexec_b64 s[8:9], s[4:5]
	s_cbranch_execz .LBB7_368
; %bb.363:
	v_mov_b32_e32 v0, 0
	s_waitcnt lgkmcnt(0)
	global_load_dwordx2 v[3:4], v0, s[6:7] offset:24 glc
	s_waitcnt vmcnt(0)
	buffer_wbinvl1_vol
	global_load_dwordx2 v[1:2], v0, s[6:7] offset:40
	global_load_dwordx2 v[5:6], v0, s[6:7]
	s_waitcnt vmcnt(1)
	v_and_b32_e32 v1, v1, v3
	v_and_b32_e32 v2, v2, v4
	v_mul_lo_u32 v2, v2, 24
	v_mul_hi_u32 v7, v1, 24
	v_mul_lo_u32 v1, v1, 24
	v_add_u32_e32 v2, v7, v2
	s_waitcnt vmcnt(0)
	v_add_co_u32_e32 v1, vcc, v5, v1
	v_addc_co_u32_e32 v2, vcc, v6, v2, vcc
	global_load_dwordx2 v[1:2], v[1:2], off glc
	s_waitcnt vmcnt(0)
	global_atomic_cmpswap_x2 v[5:6], v0, v[1:4], s[6:7] offset:24 glc
	s_waitcnt vmcnt(0)
	buffer_wbinvl1_vol
	v_cmp_ne_u64_e32 vcc, v[5:6], v[3:4]
	s_and_saveexec_b64 s[10:11], vcc
	s_cbranch_execz .LBB7_367
; %bb.364:
	s_mov_b64 s[12:13], 0
.LBB7_365:                              ; =>This Inner Loop Header: Depth=1
	s_sleep 1
	global_load_dwordx2 v[1:2], v0, s[6:7] offset:40
	global_load_dwordx2 v[7:8], v0, s[6:7]
	v_mov_b32_e32 v3, v5
	v_mov_b32_e32 v4, v6
	s_waitcnt vmcnt(1)
	v_and_b32_e32 v1, v1, v3
	s_waitcnt vmcnt(0)
	v_mad_u64_u32 v[5:6], s[14:15], v1, 24, v[7:8]
	v_and_b32_e32 v2, v2, v4
	v_mov_b32_e32 v1, v6
	v_mad_u64_u32 v[1:2], s[14:15], v2, 24, v[1:2]
	v_mov_b32_e32 v6, v1
	global_load_dwordx2 v[1:2], v[5:6], off glc
	s_waitcnt vmcnt(0)
	global_atomic_cmpswap_x2 v[5:6], v0, v[1:4], s[6:7] offset:24 glc
	s_waitcnt vmcnt(0)
	buffer_wbinvl1_vol
	v_cmp_eq_u64_e32 vcc, v[5:6], v[3:4]
	s_or_b64 s[12:13], vcc, s[12:13]
	s_andn2_b64 exec, exec, s[12:13]
	s_cbranch_execnz .LBB7_365
; %bb.366:
	s_or_b64 exec, exec, s[12:13]
.LBB7_367:
	s_or_b64 exec, exec, s[10:11]
.LBB7_368:
	s_or_b64 exec, exec, s[8:9]
	v_mov_b32_e32 v4, 0
	s_waitcnt lgkmcnt(0)
	global_load_dwordx2 v[7:8], v4, s[6:7] offset:40
	global_load_dwordx4 v[0:3], v4, s[6:7]
	v_readfirstlane_b32 s9, v6
	v_readfirstlane_b32 s8, v5
	s_mov_b64 s[10:11], exec
	s_waitcnt vmcnt(1)
	v_readfirstlane_b32 s12, v7
	v_readfirstlane_b32 s13, v8
	s_and_b64 s[12:13], s[12:13], s[8:9]
	s_mul_i32 s14, s13, 24
	s_mul_hi_u32 s15, s12, 24
	s_mul_i32 s16, s12, 24
	s_add_i32 s14, s15, s14
	v_mov_b32_e32 v5, s14
	s_waitcnt vmcnt(0)
	v_add_co_u32_e32 v7, vcc, s16, v0
	v_addc_co_u32_e32 v8, vcc, v1, v5, vcc
	s_and_saveexec_b64 s[14:15], s[4:5]
	s_cbranch_execz .LBB7_370
; %bb.369:
	v_mov_b32_e32 v9, s10
	v_mov_b32_e32 v10, s11
	;; [unrolled: 1-line block ×4, first 2 shown]
	global_store_dwordx4 v[7:8], v[9:12], off offset:8
.LBB7_370:
	s_or_b64 exec, exec, s[14:15]
	s_lshl_b64 s[10:11], s[12:13], 12
	v_mov_b32_e32 v5, s11
	v_add_co_u32_e32 v2, vcc, s10, v2
	v_addc_co_u32_e32 v11, vcc, v3, v5, vcc
	v_lshlrev_b32_e32 v29, 6, v30
	s_mov_b32 s12, 0
	v_mov_b32_e32 v3, 33
	v_mov_b32_e32 v5, v4
	;; [unrolled: 1-line block ×3, first 2 shown]
	v_readfirstlane_b32 s10, v2
	v_readfirstlane_b32 s11, v11
	v_add_co_u32_e32 v9, vcc, v2, v29
	s_mov_b32 s13, s12
	s_mov_b32 s14, s12
	;; [unrolled: 1-line block ×3, first 2 shown]
	s_nop 0
	global_store_dwordx4 v29, v[3:6], s[10:11]
	v_mov_b32_e32 v2, s12
	v_addc_co_u32_e32 v10, vcc, 0, v11, vcc
	v_mov_b32_e32 v3, s13
	v_mov_b32_e32 v4, s14
	;; [unrolled: 1-line block ×3, first 2 shown]
	global_store_dwordx4 v29, v[2:5], s[10:11] offset:16
	global_store_dwordx4 v29, v[2:5], s[10:11] offset:32
	;; [unrolled: 1-line block ×3, first 2 shown]
	s_and_saveexec_b64 s[10:11], s[4:5]
	s_cbranch_execz .LBB7_378
; %bb.371:
	v_mov_b32_e32 v6, 0
	global_load_dwordx2 v[13:14], v6, s[6:7] offset:32 glc
	global_load_dwordx2 v[2:3], v6, s[6:7] offset:40
	v_mov_b32_e32 v11, s8
	v_mov_b32_e32 v12, s9
	s_waitcnt vmcnt(0)
	v_and_b32_e32 v2, s8, v2
	v_and_b32_e32 v3, s9, v3
	v_mul_lo_u32 v3, v3, 24
	v_mul_hi_u32 v4, v2, 24
	v_mul_lo_u32 v2, v2, 24
	v_add_u32_e32 v3, v4, v3
	v_add_co_u32_e32 v4, vcc, v0, v2
	v_addc_co_u32_e32 v5, vcc, v1, v3, vcc
	global_store_dwordx2 v[4:5], v[13:14], off
	s_waitcnt vmcnt(0)
	global_atomic_cmpswap_x2 v[2:3], v6, v[11:14], s[6:7] offset:32 glc
	s_waitcnt vmcnt(0)
	v_cmp_ne_u64_e32 vcc, v[2:3], v[13:14]
	s_and_saveexec_b64 s[12:13], vcc
	s_cbranch_execz .LBB7_374
; %bb.372:
	s_mov_b64 s[14:15], 0
.LBB7_373:                              ; =>This Inner Loop Header: Depth=1
	s_sleep 1
	global_store_dwordx2 v[4:5], v[2:3], off
	v_mov_b32_e32 v0, s8
	v_mov_b32_e32 v1, s9
	s_waitcnt vmcnt(0)
	global_atomic_cmpswap_x2 v[0:1], v6, v[0:3], s[6:7] offset:32 glc
	s_waitcnt vmcnt(0)
	v_cmp_eq_u64_e32 vcc, v[0:1], v[2:3]
	v_mov_b32_e32 v3, v1
	s_or_b64 s[14:15], vcc, s[14:15]
	v_mov_b32_e32 v2, v0
	s_andn2_b64 exec, exec, s[14:15]
	s_cbranch_execnz .LBB7_373
.LBB7_374:
	s_or_b64 exec, exec, s[12:13]
	v_mov_b32_e32 v3, 0
	global_load_dwordx2 v[0:1], v3, s[6:7] offset:16
	s_mov_b64 s[12:13], exec
	v_mbcnt_lo_u32_b32 v2, s12, 0
	v_mbcnt_hi_u32_b32 v2, s13, v2
	v_cmp_eq_u32_e32 vcc, 0, v2
	s_and_saveexec_b64 s[14:15], vcc
	s_cbranch_execz .LBB7_376
; %bb.375:
	s_bcnt1_i32_b64 s12, s[12:13]
	v_mov_b32_e32 v2, s12
	s_waitcnt vmcnt(0)
	global_atomic_add_x2 v[0:1], v[2:3], off offset:8
.LBB7_376:
	s_or_b64 exec, exec, s[14:15]
	s_waitcnt vmcnt(0)
	global_load_dwordx2 v[2:3], v[0:1], off offset:16
	s_waitcnt vmcnt(0)
	v_cmp_eq_u64_e32 vcc, 0, v[2:3]
	s_cbranch_vccnz .LBB7_378
; %bb.377:
	global_load_dword v0, v[0:1], off offset:24
	v_mov_b32_e32 v1, 0
	s_waitcnt vmcnt(0)
	v_readfirstlane_b32 s12, v0
	s_and_b32 m0, s12, 0xffffff
	global_store_dwordx2 v[2:3], v[0:1], off
	s_sendmsg sendmsg(MSG_INTERRUPT)
.LBB7_378:
	s_or_b64 exec, exec, s[10:11]
	s_branch .LBB7_382
.LBB7_379:                              ;   in Loop: Header=BB7_382 Depth=1
	s_or_b64 exec, exec, s[10:11]
	v_readfirstlane_b32 s10, v0
	s_cmp_eq_u32 s10, 0
	s_cbranch_scc1 .LBB7_381
; %bb.380:                              ;   in Loop: Header=BB7_382 Depth=1
	s_sleep 1
	s_cbranch_execnz .LBB7_382
	s_branch .LBB7_428
.LBB7_381:
	s_branch .LBB7_428
.LBB7_382:                              ; =>This Inner Loop Header: Depth=1
	v_mov_b32_e32 v0, 1
	s_and_saveexec_b64 s[10:11], s[4:5]
	s_cbranch_execz .LBB7_379
; %bb.383:                              ;   in Loop: Header=BB7_382 Depth=1
	global_load_dword v0, v[7:8], off offset:20 glc
	s_waitcnt vmcnt(0)
	buffer_wbinvl1_vol
	v_and_b32_e32 v0, 1, v0
	s_branch .LBB7_379
.LBB7_384:
	v_readlane_b32 s4, v62, 0
	v_readlane_b32 s5, v62, 1
	s_load_dwordx2 s[6:7], s[4:5], 0x50
	v_mbcnt_lo_u32_b32 v0, -1, 0
	v_mbcnt_hi_u32_b32 v30, -1, v0
	v_readfirstlane_b32 s4, v30
	v_mov_b32_e32 v5, 0
	v_mov_b32_e32 v6, 0
	v_cmp_eq_u32_e64 s[4:5], s4, v30
	s_and_saveexec_b64 s[8:9], s[4:5]
	s_cbranch_execz .LBB7_390
; %bb.385:
	v_mov_b32_e32 v0, 0
	s_waitcnt lgkmcnt(0)
	global_load_dwordx2 v[3:4], v0, s[6:7] offset:24 glc
	s_waitcnt vmcnt(0)
	buffer_wbinvl1_vol
	global_load_dwordx2 v[1:2], v0, s[6:7] offset:40
	global_load_dwordx2 v[5:6], v0, s[6:7]
	s_waitcnt vmcnt(1)
	v_and_b32_e32 v1, v1, v3
	v_and_b32_e32 v2, v2, v4
	v_mul_lo_u32 v2, v2, 24
	v_mul_hi_u32 v7, v1, 24
	v_mul_lo_u32 v1, v1, 24
	v_add_u32_e32 v2, v7, v2
	s_waitcnt vmcnt(0)
	v_add_co_u32_e32 v1, vcc, v5, v1
	v_addc_co_u32_e32 v2, vcc, v6, v2, vcc
	global_load_dwordx2 v[1:2], v[1:2], off glc
	s_waitcnt vmcnt(0)
	global_atomic_cmpswap_x2 v[5:6], v0, v[1:4], s[6:7] offset:24 glc
	s_waitcnt vmcnt(0)
	buffer_wbinvl1_vol
	v_cmp_ne_u64_e32 vcc, v[5:6], v[3:4]
	s_and_saveexec_b64 s[10:11], vcc
	s_cbranch_execz .LBB7_389
; %bb.386:
	s_mov_b64 s[12:13], 0
.LBB7_387:                              ; =>This Inner Loop Header: Depth=1
	s_sleep 1
	global_load_dwordx2 v[1:2], v0, s[6:7] offset:40
	global_load_dwordx2 v[7:8], v0, s[6:7]
	v_mov_b32_e32 v3, v5
	v_mov_b32_e32 v4, v6
	s_waitcnt vmcnt(1)
	v_and_b32_e32 v1, v1, v3
	s_waitcnt vmcnt(0)
	v_mad_u64_u32 v[5:6], s[14:15], v1, 24, v[7:8]
	v_and_b32_e32 v2, v2, v4
	v_mov_b32_e32 v1, v6
	v_mad_u64_u32 v[1:2], s[14:15], v2, 24, v[1:2]
	v_mov_b32_e32 v6, v1
	global_load_dwordx2 v[1:2], v[5:6], off glc
	s_waitcnt vmcnt(0)
	global_atomic_cmpswap_x2 v[5:6], v0, v[1:4], s[6:7] offset:24 glc
	s_waitcnt vmcnt(0)
	buffer_wbinvl1_vol
	v_cmp_eq_u64_e32 vcc, v[5:6], v[3:4]
	s_or_b64 s[12:13], vcc, s[12:13]
	s_andn2_b64 exec, exec, s[12:13]
	s_cbranch_execnz .LBB7_387
; %bb.388:
	s_or_b64 exec, exec, s[12:13]
.LBB7_389:
	s_or_b64 exec, exec, s[10:11]
.LBB7_390:
	s_or_b64 exec, exec, s[8:9]
	v_mov_b32_e32 v4, 0
	s_waitcnt lgkmcnt(0)
	global_load_dwordx2 v[7:8], v4, s[6:7] offset:40
	global_load_dwordx4 v[0:3], v4, s[6:7]
	v_readfirstlane_b32 s9, v6
	v_readfirstlane_b32 s8, v5
	s_mov_b64 s[10:11], exec
	s_waitcnt vmcnt(1)
	v_readfirstlane_b32 s12, v7
	v_readfirstlane_b32 s13, v8
	s_and_b64 s[12:13], s[12:13], s[8:9]
	s_mul_i32 s14, s13, 24
	s_mul_hi_u32 s15, s12, 24
	s_mul_i32 s16, s12, 24
	s_add_i32 s14, s15, s14
	v_mov_b32_e32 v5, s14
	s_waitcnt vmcnt(0)
	v_add_co_u32_e32 v7, vcc, s16, v0
	v_addc_co_u32_e32 v8, vcc, v1, v5, vcc
	s_and_saveexec_b64 s[14:15], s[4:5]
	s_cbranch_execz .LBB7_392
; %bb.391:
	v_mov_b32_e32 v9, s10
	v_mov_b32_e32 v10, s11
	;; [unrolled: 1-line block ×4, first 2 shown]
	global_store_dwordx4 v[7:8], v[9:12], off offset:8
.LBB7_392:
	s_or_b64 exec, exec, s[14:15]
	s_lshl_b64 s[10:11], s[12:13], 12
	v_mov_b32_e32 v5, s11
	v_add_co_u32_e32 v2, vcc, s10, v2
	v_addc_co_u32_e32 v11, vcc, v3, v5, vcc
	v_lshlrev_b32_e32 v29, 6, v30
	s_mov_b32 s12, 0
	v_mov_b32_e32 v3, 33
	v_mov_b32_e32 v5, v4
	;; [unrolled: 1-line block ×3, first 2 shown]
	v_readfirstlane_b32 s10, v2
	v_readfirstlane_b32 s11, v11
	v_add_co_u32_e32 v9, vcc, v2, v29
	s_mov_b32 s13, s12
	s_mov_b32 s14, s12
	s_mov_b32 s15, s12
	s_nop 0
	global_store_dwordx4 v29, v[3:6], s[10:11]
	v_mov_b32_e32 v2, s12
	v_addc_co_u32_e32 v10, vcc, 0, v11, vcc
	v_mov_b32_e32 v3, s13
	v_mov_b32_e32 v4, s14
	;; [unrolled: 1-line block ×3, first 2 shown]
	global_store_dwordx4 v29, v[2:5], s[10:11] offset:16
	global_store_dwordx4 v29, v[2:5], s[10:11] offset:32
	;; [unrolled: 1-line block ×3, first 2 shown]
	s_and_saveexec_b64 s[10:11], s[4:5]
	s_cbranch_execz .LBB7_400
; %bb.393:
	v_mov_b32_e32 v6, 0
	global_load_dwordx2 v[13:14], v6, s[6:7] offset:32 glc
	global_load_dwordx2 v[2:3], v6, s[6:7] offset:40
	v_mov_b32_e32 v11, s8
	v_mov_b32_e32 v12, s9
	s_waitcnt vmcnt(0)
	v_and_b32_e32 v2, s8, v2
	v_and_b32_e32 v3, s9, v3
	v_mul_lo_u32 v3, v3, 24
	v_mul_hi_u32 v4, v2, 24
	v_mul_lo_u32 v2, v2, 24
	v_add_u32_e32 v3, v4, v3
	v_add_co_u32_e32 v4, vcc, v0, v2
	v_addc_co_u32_e32 v5, vcc, v1, v3, vcc
	global_store_dwordx2 v[4:5], v[13:14], off
	s_waitcnt vmcnt(0)
	global_atomic_cmpswap_x2 v[2:3], v6, v[11:14], s[6:7] offset:32 glc
	s_waitcnt vmcnt(0)
	v_cmp_ne_u64_e32 vcc, v[2:3], v[13:14]
	s_and_saveexec_b64 s[12:13], vcc
	s_cbranch_execz .LBB7_396
; %bb.394:
	s_mov_b64 s[14:15], 0
.LBB7_395:                              ; =>This Inner Loop Header: Depth=1
	s_sleep 1
	global_store_dwordx2 v[4:5], v[2:3], off
	v_mov_b32_e32 v0, s8
	v_mov_b32_e32 v1, s9
	s_waitcnt vmcnt(0)
	global_atomic_cmpswap_x2 v[0:1], v6, v[0:3], s[6:7] offset:32 glc
	s_waitcnt vmcnt(0)
	v_cmp_eq_u64_e32 vcc, v[0:1], v[2:3]
	v_mov_b32_e32 v3, v1
	s_or_b64 s[14:15], vcc, s[14:15]
	v_mov_b32_e32 v2, v0
	s_andn2_b64 exec, exec, s[14:15]
	s_cbranch_execnz .LBB7_395
.LBB7_396:
	s_or_b64 exec, exec, s[12:13]
	v_mov_b32_e32 v3, 0
	global_load_dwordx2 v[0:1], v3, s[6:7] offset:16
	s_mov_b64 s[12:13], exec
	v_mbcnt_lo_u32_b32 v2, s12, 0
	v_mbcnt_hi_u32_b32 v2, s13, v2
	v_cmp_eq_u32_e32 vcc, 0, v2
	s_and_saveexec_b64 s[14:15], vcc
	s_cbranch_execz .LBB7_398
; %bb.397:
	s_bcnt1_i32_b64 s12, s[12:13]
	v_mov_b32_e32 v2, s12
	s_waitcnt vmcnt(0)
	global_atomic_add_x2 v[0:1], v[2:3], off offset:8
.LBB7_398:
	s_or_b64 exec, exec, s[14:15]
	s_waitcnt vmcnt(0)
	global_load_dwordx2 v[2:3], v[0:1], off offset:16
	s_waitcnt vmcnt(0)
	v_cmp_eq_u64_e32 vcc, 0, v[2:3]
	s_cbranch_vccnz .LBB7_400
; %bb.399:
	global_load_dword v0, v[0:1], off offset:24
	v_mov_b32_e32 v1, 0
	s_waitcnt vmcnt(0)
	v_readfirstlane_b32 s12, v0
	s_and_b32 m0, s12, 0xffffff
	global_store_dwordx2 v[2:3], v[0:1], off
	s_sendmsg sendmsg(MSG_INTERRUPT)
.LBB7_400:
	s_or_b64 exec, exec, s[10:11]
	s_branch .LBB7_404
.LBB7_401:                              ;   in Loop: Header=BB7_404 Depth=1
	s_or_b64 exec, exec, s[10:11]
	v_readfirstlane_b32 s10, v0
	s_cmp_eq_u32 s10, 0
	s_cbranch_scc1 .LBB7_403
; %bb.402:                              ;   in Loop: Header=BB7_404 Depth=1
	s_sleep 1
	s_cbranch_execnz .LBB7_404
	s_branch .LBB7_516
.LBB7_403:
	s_branch .LBB7_516
.LBB7_404:                              ; =>This Inner Loop Header: Depth=1
	v_mov_b32_e32 v0, 1
	s_and_saveexec_b64 s[10:11], s[4:5]
	s_cbranch_execz .LBB7_401
; %bb.405:                              ;   in Loop: Header=BB7_404 Depth=1
	global_load_dword v0, v[7:8], off offset:20 glc
	s_waitcnt vmcnt(0)
	buffer_wbinvl1_vol
	v_and_b32_e32 v0, 1, v0
	s_branch .LBB7_401
.LBB7_406:
	v_readlane_b32 s4, v62, 0
	v_readlane_b32 s5, v62, 1
	s_load_dwordx2 s[6:7], s[4:5], 0x50
	v_mbcnt_lo_u32_b32 v0, -1, 0
	v_mbcnt_hi_u32_b32 v30, -1, v0
	v_readfirstlane_b32 s4, v30
	v_mov_b32_e32 v5, 0
	v_mov_b32_e32 v6, 0
	v_cmp_eq_u32_e64 s[4:5], s4, v30
	s_and_saveexec_b64 s[8:9], s[4:5]
	s_cbranch_execz .LBB7_412
; %bb.407:
	v_mov_b32_e32 v0, 0
	s_waitcnt lgkmcnt(0)
	global_load_dwordx2 v[3:4], v0, s[6:7] offset:24 glc
	s_waitcnt vmcnt(0)
	buffer_wbinvl1_vol
	global_load_dwordx2 v[1:2], v0, s[6:7] offset:40
	global_load_dwordx2 v[5:6], v0, s[6:7]
	s_waitcnt vmcnt(1)
	v_and_b32_e32 v1, v1, v3
	v_and_b32_e32 v2, v2, v4
	v_mul_lo_u32 v2, v2, 24
	v_mul_hi_u32 v7, v1, 24
	v_mul_lo_u32 v1, v1, 24
	v_add_u32_e32 v2, v7, v2
	s_waitcnt vmcnt(0)
	v_add_co_u32_e32 v1, vcc, v5, v1
	v_addc_co_u32_e32 v2, vcc, v6, v2, vcc
	global_load_dwordx2 v[1:2], v[1:2], off glc
	s_waitcnt vmcnt(0)
	global_atomic_cmpswap_x2 v[5:6], v0, v[1:4], s[6:7] offset:24 glc
	s_waitcnt vmcnt(0)
	buffer_wbinvl1_vol
	v_cmp_ne_u64_e32 vcc, v[5:6], v[3:4]
	s_and_saveexec_b64 s[10:11], vcc
	s_cbranch_execz .LBB7_411
; %bb.408:
	s_mov_b64 s[12:13], 0
.LBB7_409:                              ; =>This Inner Loop Header: Depth=1
	s_sleep 1
	global_load_dwordx2 v[1:2], v0, s[6:7] offset:40
	global_load_dwordx2 v[7:8], v0, s[6:7]
	v_mov_b32_e32 v3, v5
	v_mov_b32_e32 v4, v6
	s_waitcnt vmcnt(1)
	v_and_b32_e32 v1, v1, v3
	s_waitcnt vmcnt(0)
	v_mad_u64_u32 v[5:6], s[14:15], v1, 24, v[7:8]
	v_and_b32_e32 v2, v2, v4
	v_mov_b32_e32 v1, v6
	v_mad_u64_u32 v[1:2], s[14:15], v2, 24, v[1:2]
	v_mov_b32_e32 v6, v1
	global_load_dwordx2 v[1:2], v[5:6], off glc
	s_waitcnt vmcnt(0)
	global_atomic_cmpswap_x2 v[5:6], v0, v[1:4], s[6:7] offset:24 glc
	s_waitcnt vmcnt(0)
	buffer_wbinvl1_vol
	v_cmp_eq_u64_e32 vcc, v[5:6], v[3:4]
	s_or_b64 s[12:13], vcc, s[12:13]
	s_andn2_b64 exec, exec, s[12:13]
	s_cbranch_execnz .LBB7_409
; %bb.410:
	s_or_b64 exec, exec, s[12:13]
.LBB7_411:
	s_or_b64 exec, exec, s[10:11]
.LBB7_412:
	s_or_b64 exec, exec, s[8:9]
	v_mov_b32_e32 v4, 0
	s_waitcnt lgkmcnt(0)
	global_load_dwordx2 v[7:8], v4, s[6:7] offset:40
	global_load_dwordx4 v[0:3], v4, s[6:7]
	v_readfirstlane_b32 s9, v6
	v_readfirstlane_b32 s8, v5
	s_mov_b64 s[10:11], exec
	s_waitcnt vmcnt(1)
	v_readfirstlane_b32 s12, v7
	v_readfirstlane_b32 s13, v8
	s_and_b64 s[12:13], s[12:13], s[8:9]
	s_mul_i32 s14, s13, 24
	s_mul_hi_u32 s15, s12, 24
	s_mul_i32 s16, s12, 24
	s_add_i32 s14, s15, s14
	v_mov_b32_e32 v5, s14
	s_waitcnt vmcnt(0)
	v_add_co_u32_e32 v7, vcc, s16, v0
	v_addc_co_u32_e32 v8, vcc, v1, v5, vcc
	s_and_saveexec_b64 s[14:15], s[4:5]
	s_cbranch_execz .LBB7_414
; %bb.413:
	v_mov_b32_e32 v9, s10
	v_mov_b32_e32 v10, s11
	;; [unrolled: 1-line block ×4, first 2 shown]
	global_store_dwordx4 v[7:8], v[9:12], off offset:8
.LBB7_414:
	s_or_b64 exec, exec, s[14:15]
	s_lshl_b64 s[10:11], s[12:13], 12
	v_mov_b32_e32 v5, s11
	v_add_co_u32_e32 v2, vcc, s10, v2
	v_addc_co_u32_e32 v11, vcc, v3, v5, vcc
	v_lshlrev_b32_e32 v29, 6, v30
	s_mov_b32 s12, 0
	v_mov_b32_e32 v3, 33
	v_mov_b32_e32 v5, v4
	;; [unrolled: 1-line block ×3, first 2 shown]
	v_readfirstlane_b32 s10, v2
	v_readfirstlane_b32 s11, v11
	v_add_co_u32_e32 v9, vcc, v2, v29
	s_mov_b32 s13, s12
	s_mov_b32 s14, s12
	s_mov_b32 s15, s12
	s_nop 0
	global_store_dwordx4 v29, v[3:6], s[10:11]
	v_mov_b32_e32 v2, s12
	v_addc_co_u32_e32 v10, vcc, 0, v11, vcc
	v_mov_b32_e32 v3, s13
	v_mov_b32_e32 v4, s14
	v_mov_b32_e32 v5, s15
	global_store_dwordx4 v29, v[2:5], s[10:11] offset:16
	global_store_dwordx4 v29, v[2:5], s[10:11] offset:32
	global_store_dwordx4 v29, v[2:5], s[10:11] offset:48
	s_and_saveexec_b64 s[10:11], s[4:5]
	s_cbranch_execz .LBB7_422
; %bb.415:
	v_mov_b32_e32 v6, 0
	global_load_dwordx2 v[13:14], v6, s[6:7] offset:32 glc
	global_load_dwordx2 v[2:3], v6, s[6:7] offset:40
	v_mov_b32_e32 v11, s8
	v_mov_b32_e32 v12, s9
	s_waitcnt vmcnt(0)
	v_and_b32_e32 v2, s8, v2
	v_and_b32_e32 v3, s9, v3
	v_mul_lo_u32 v3, v3, 24
	v_mul_hi_u32 v4, v2, 24
	v_mul_lo_u32 v2, v2, 24
	v_add_u32_e32 v3, v4, v3
	v_add_co_u32_e32 v4, vcc, v0, v2
	v_addc_co_u32_e32 v5, vcc, v1, v3, vcc
	global_store_dwordx2 v[4:5], v[13:14], off
	s_waitcnt vmcnt(0)
	global_atomic_cmpswap_x2 v[2:3], v6, v[11:14], s[6:7] offset:32 glc
	s_waitcnt vmcnt(0)
	v_cmp_ne_u64_e32 vcc, v[2:3], v[13:14]
	s_and_saveexec_b64 s[12:13], vcc
	s_cbranch_execz .LBB7_418
; %bb.416:
	s_mov_b64 s[14:15], 0
.LBB7_417:                              ; =>This Inner Loop Header: Depth=1
	s_sleep 1
	global_store_dwordx2 v[4:5], v[2:3], off
	v_mov_b32_e32 v0, s8
	v_mov_b32_e32 v1, s9
	s_waitcnt vmcnt(0)
	global_atomic_cmpswap_x2 v[0:1], v6, v[0:3], s[6:7] offset:32 glc
	s_waitcnt vmcnt(0)
	v_cmp_eq_u64_e32 vcc, v[0:1], v[2:3]
	v_mov_b32_e32 v3, v1
	s_or_b64 s[14:15], vcc, s[14:15]
	v_mov_b32_e32 v2, v0
	s_andn2_b64 exec, exec, s[14:15]
	s_cbranch_execnz .LBB7_417
.LBB7_418:
	s_or_b64 exec, exec, s[12:13]
	v_mov_b32_e32 v3, 0
	global_load_dwordx2 v[0:1], v3, s[6:7] offset:16
	s_mov_b64 s[12:13], exec
	v_mbcnt_lo_u32_b32 v2, s12, 0
	v_mbcnt_hi_u32_b32 v2, s13, v2
	v_cmp_eq_u32_e32 vcc, 0, v2
	s_and_saveexec_b64 s[14:15], vcc
	s_cbranch_execz .LBB7_420
; %bb.419:
	s_bcnt1_i32_b64 s12, s[12:13]
	v_mov_b32_e32 v2, s12
	s_waitcnt vmcnt(0)
	global_atomic_add_x2 v[0:1], v[2:3], off offset:8
.LBB7_420:
	s_or_b64 exec, exec, s[14:15]
	s_waitcnt vmcnt(0)
	global_load_dwordx2 v[2:3], v[0:1], off offset:16
	s_waitcnt vmcnt(0)
	v_cmp_eq_u64_e32 vcc, 0, v[2:3]
	s_cbranch_vccnz .LBB7_422
; %bb.421:
	global_load_dword v0, v[0:1], off offset:24
	v_mov_b32_e32 v1, 0
	s_waitcnt vmcnt(0)
	v_readfirstlane_b32 s12, v0
	s_and_b32 m0, s12, 0xffffff
	global_store_dwordx2 v[2:3], v[0:1], off
	s_sendmsg sendmsg(MSG_INTERRUPT)
.LBB7_422:
	s_or_b64 exec, exec, s[10:11]
	s_branch .LBB7_426
.LBB7_423:                              ;   in Loop: Header=BB7_426 Depth=1
	s_or_b64 exec, exec, s[10:11]
	v_readfirstlane_b32 s10, v0
	s_cmp_eq_u32 s10, 0
	s_cbranch_scc1 .LBB7_425
; %bb.424:                              ;   in Loop: Header=BB7_426 Depth=1
	s_sleep 1
	s_cbranch_execnz .LBB7_426
	s_branch .LBB7_604
.LBB7_425:
	s_branch .LBB7_604
.LBB7_426:                              ; =>This Inner Loop Header: Depth=1
	v_mov_b32_e32 v0, 1
	s_and_saveexec_b64 s[10:11], s[4:5]
	s_cbranch_execz .LBB7_423
; %bb.427:                              ;   in Loop: Header=BB7_426 Depth=1
	global_load_dword v0, v[7:8], off offset:20 glc
	s_waitcnt vmcnt(0)
	buffer_wbinvl1_vol
	v_and_b32_e32 v0, 1, v0
	s_branch .LBB7_423
.LBB7_428:
	global_load_dwordx2 v[0:1], v[9:10], off
	s_and_saveexec_b64 s[10:11], s[4:5]
	s_cbranch_execz .LBB7_431
; %bb.429:
	v_mov_b32_e32 v8, 0
	global_load_dwordx2 v[2:3], v8, s[6:7] offset:40
	global_load_dwordx2 v[11:12], v8, s[6:7] offset:24 glc
	global_load_dwordx2 v[4:5], v8, s[6:7]
	s_waitcnt vmcnt(2)
	v_readfirstlane_b32 s12, v2
	v_readfirstlane_b32 s13, v3
	s_add_u32 s14, s12, 1
	s_addc_u32 s15, s13, 0
	s_add_u32 s4, s14, s8
	s_addc_u32 s5, s15, s9
	s_cmp_eq_u64 s[4:5], 0
	s_cselect_b32 s5, s15, s5
	s_cselect_b32 s4, s14, s4
	s_and_b64 s[8:9], s[4:5], s[12:13]
	s_mul_i32 s9, s9, 24
	s_mul_hi_u32 s12, s8, 24
	s_mul_i32 s8, s8, 24
	s_add_i32 s9, s12, s9
	v_mov_b32_e32 v2, s9
	s_waitcnt vmcnt(0)
	v_add_co_u32_e32 v6, vcc, s8, v4
	v_addc_co_u32_e32 v7, vcc, v5, v2, vcc
	v_mov_b32_e32 v9, s4
	global_store_dwordx2 v[6:7], v[11:12], off
	v_mov_b32_e32 v10, s5
	s_waitcnt vmcnt(0)
	global_atomic_cmpswap_x2 v[4:5], v8, v[9:12], s[6:7] offset:24 glc
	s_mov_b64 s[8:9], 0
	s_waitcnt vmcnt(0)
	v_cmp_ne_u64_e32 vcc, v[4:5], v[11:12]
	s_and_b64 exec, exec, vcc
	s_cbranch_execz .LBB7_431
.LBB7_430:                              ; =>This Inner Loop Header: Depth=1
	s_sleep 1
	global_store_dwordx2 v[6:7], v[4:5], off
	v_mov_b32_e32 v2, s4
	v_mov_b32_e32 v3, s5
	s_waitcnt vmcnt(0)
	global_atomic_cmpswap_x2 v[2:3], v8, v[2:5], s[6:7] offset:24 glc
	s_waitcnt vmcnt(0)
	v_cmp_eq_u64_e32 vcc, v[2:3], v[4:5]
	v_mov_b32_e32 v5, v3
	s_or_b64 s[8:9], vcc, s[8:9]
	v_mov_b32_e32 v4, v2
	s_andn2_b64 exec, exec, s[8:9]
	s_cbranch_execnz .LBB7_430
.LBB7_431:
	s_or_b64 exec, exec, s[10:11]
	s_getpc_b64 s[8:9]
	s_add_u32 s8, s8, .str.28@rel32@lo+4
	s_addc_u32 s9, s9, .str.28@rel32@hi+12
	s_cmp_lg_u64 s[8:9], 0
	s_cbranch_scc0 .LBB7_695
; %bb.432:
	s_waitcnt vmcnt(0)
	v_and_b32_e32 v6, -3, v0
	v_mov_b32_e32 v7, v1
	s_mov_b64 s[10:11], 35
	v_mov_b32_e32 v26, 0
	v_mov_b32_e32 v4, 2
	;; [unrolled: 1-line block ×3, first 2 shown]
	s_branch .LBB7_434
.LBB7_433:                              ;   in Loop: Header=BB7_434 Depth=1
	s_or_b64 exec, exec, s[16:17]
	s_sub_u32 s10, s10, s12
	s_subb_u32 s11, s11, s13
	s_add_u32 s8, s8, s12
	s_addc_u32 s9, s9, s13
	s_cmp_lg_u64 s[10:11], 0
	s_cbranch_scc0 .LBB7_692
.LBB7_434:                              ; =>This Loop Header: Depth=1
                                        ;     Child Loop BB7_437 Depth 2
                                        ;     Child Loop BB7_445 Depth 2
	;; [unrolled: 1-line block ×11, first 2 shown]
	v_cmp_lt_u64_e64 s[4:5], s[10:11], 56
	v_cmp_gt_u64_e64 s[14:15], s[10:11], 7
	s_and_b64 s[4:5], s[4:5], exec
	s_cselect_b32 s13, s11, 0
	s_cselect_b32 s12, s10, 56
	s_add_u32 s4, s8, 8
	s_addc_u32 s5, s9, 0
	s_and_b64 vcc, exec, s[14:15]
	s_cbranch_vccnz .LBB7_438
; %bb.435:                              ;   in Loop: Header=BB7_434 Depth=1
	s_cmp_eq_u64 s[10:11], 0
	s_cbranch_scc1 .LBB7_439
; %bb.436:                              ;   in Loop: Header=BB7_434 Depth=1
	s_waitcnt vmcnt(0)
	v_mov_b32_e32 v8, 0
	s_lshl_b64 s[4:5], s[12:13], 3
	s_mov_b64 s[14:15], 0
	v_mov_b32_e32 v9, 0
	s_mov_b64 s[16:17], s[8:9]
.LBB7_437:                              ;   Parent Loop BB7_434 Depth=1
                                        ; =>  This Inner Loop Header: Depth=2
	global_load_ubyte v2, v26, s[16:17]
	s_waitcnt vmcnt(0)
	v_and_b32_e32 v25, 0xffff, v2
	v_lshlrev_b64 v[2:3], s14, v[25:26]
	s_add_u32 s14, s14, 8
	s_addc_u32 s15, s15, 0
	s_add_u32 s16, s16, 1
	s_addc_u32 s17, s17, 0
	v_or_b32_e32 v8, v2, v8
	s_cmp_lg_u32 s4, s14
	v_or_b32_e32 v9, v3, v9
	s_cbranch_scc1 .LBB7_437
	s_branch .LBB7_440
.LBB7_438:                              ;   in Loop: Header=BB7_434 Depth=1
	s_mov_b32 s18, 0
	s_branch .LBB7_441
.LBB7_439:                              ;   in Loop: Header=BB7_434 Depth=1
	s_waitcnt vmcnt(0)
	v_mov_b32_e32 v8, 0
	v_mov_b32_e32 v9, 0
.LBB7_440:                              ;   in Loop: Header=BB7_434 Depth=1
	s_mov_b64 s[4:5], s[8:9]
	s_mov_b32 s18, 0
	s_cbranch_execnz .LBB7_442
.LBB7_441:                              ;   in Loop: Header=BB7_434 Depth=1
	global_load_dwordx2 v[8:9], v26, s[8:9]
	s_add_i32 s18, s12, -8
.LBB7_442:                              ;   in Loop: Header=BB7_434 Depth=1
	s_add_u32 s14, s4, 8
	s_addc_u32 s15, s5, 0
	s_cmp_gt_u32 s18, 7
	s_cbranch_scc1 .LBB7_446
; %bb.443:                              ;   in Loop: Header=BB7_434 Depth=1
	s_cmp_eq_u32 s18, 0
	s_cbranch_scc1 .LBB7_447
; %bb.444:                              ;   in Loop: Header=BB7_434 Depth=1
	v_mov_b32_e32 v10, 0
	s_mov_b64 s[14:15], 0
	v_mov_b32_e32 v11, 0
	s_mov_b64 s[16:17], 0
.LBB7_445:                              ;   Parent Loop BB7_434 Depth=1
                                        ; =>  This Inner Loop Header: Depth=2
	s_add_u32 s20, s4, s16
	s_addc_u32 s21, s5, s17
	global_load_ubyte v2, v26, s[20:21]
	s_add_u32 s16, s16, 1
	s_addc_u32 s17, s17, 0
	s_waitcnt vmcnt(0)
	v_and_b32_e32 v25, 0xffff, v2
	v_lshlrev_b64 v[2:3], s14, v[25:26]
	s_add_u32 s14, s14, 8
	s_addc_u32 s15, s15, 0
	v_or_b32_e32 v10, v2, v10
	s_cmp_lg_u32 s18, s16
	v_or_b32_e32 v11, v3, v11
	s_cbranch_scc1 .LBB7_445
	s_branch .LBB7_448
.LBB7_446:                              ;   in Loop: Header=BB7_434 Depth=1
                                        ; implicit-def: $vgpr10_vgpr11
	s_mov_b32 s19, 0
	s_branch .LBB7_449
.LBB7_447:                              ;   in Loop: Header=BB7_434 Depth=1
	v_mov_b32_e32 v10, 0
	v_mov_b32_e32 v11, 0
.LBB7_448:                              ;   in Loop: Header=BB7_434 Depth=1
	s_mov_b64 s[14:15], s[4:5]
	s_mov_b32 s19, 0
	s_cbranch_execnz .LBB7_450
.LBB7_449:                              ;   in Loop: Header=BB7_434 Depth=1
	global_load_dwordx2 v[10:11], v26, s[4:5]
	s_add_i32 s19, s18, -8
.LBB7_450:                              ;   in Loop: Header=BB7_434 Depth=1
	s_add_u32 s4, s14, 8
	s_addc_u32 s5, s15, 0
	s_cmp_gt_u32 s19, 7
	s_cbranch_scc1 .LBB7_454
; %bb.451:                              ;   in Loop: Header=BB7_434 Depth=1
	s_cmp_eq_u32 s19, 0
	s_cbranch_scc1 .LBB7_455
; %bb.452:                              ;   in Loop: Header=BB7_434 Depth=1
	v_mov_b32_e32 v12, 0
	s_mov_b64 s[4:5], 0
	v_mov_b32_e32 v13, 0
	s_mov_b64 s[16:17], 0
.LBB7_453:                              ;   Parent Loop BB7_434 Depth=1
                                        ; =>  This Inner Loop Header: Depth=2
	s_add_u32 s20, s14, s16
	s_addc_u32 s21, s15, s17
	global_load_ubyte v2, v26, s[20:21]
	s_add_u32 s16, s16, 1
	s_addc_u32 s17, s17, 0
	s_waitcnt vmcnt(0)
	v_and_b32_e32 v25, 0xffff, v2
	v_lshlrev_b64 v[2:3], s4, v[25:26]
	s_add_u32 s4, s4, 8
	s_addc_u32 s5, s5, 0
	v_or_b32_e32 v12, v2, v12
	s_cmp_lg_u32 s19, s16
	v_or_b32_e32 v13, v3, v13
	s_cbranch_scc1 .LBB7_453
	s_branch .LBB7_456
.LBB7_454:                              ;   in Loop: Header=BB7_434 Depth=1
	s_mov_b32 s18, 0
	s_branch .LBB7_457
.LBB7_455:                              ;   in Loop: Header=BB7_434 Depth=1
	v_mov_b32_e32 v12, 0
	v_mov_b32_e32 v13, 0
.LBB7_456:                              ;   in Loop: Header=BB7_434 Depth=1
	s_mov_b64 s[4:5], s[14:15]
	s_mov_b32 s18, 0
	s_cbranch_execnz .LBB7_458
.LBB7_457:                              ;   in Loop: Header=BB7_434 Depth=1
	global_load_dwordx2 v[12:13], v26, s[14:15]
	s_add_i32 s18, s19, -8
.LBB7_458:                              ;   in Loop: Header=BB7_434 Depth=1
	s_add_u32 s14, s4, 8
	s_addc_u32 s15, s5, 0
	s_cmp_gt_u32 s18, 7
	s_cbranch_scc1 .LBB7_462
; %bb.459:                              ;   in Loop: Header=BB7_434 Depth=1
	s_cmp_eq_u32 s18, 0
	s_cbranch_scc1 .LBB7_463
; %bb.460:                              ;   in Loop: Header=BB7_434 Depth=1
	v_mov_b32_e32 v14, 0
	s_mov_b64 s[14:15], 0
	v_mov_b32_e32 v15, 0
	s_mov_b64 s[16:17], 0
.LBB7_461:                              ;   Parent Loop BB7_434 Depth=1
                                        ; =>  This Inner Loop Header: Depth=2
	s_add_u32 s20, s4, s16
	s_addc_u32 s21, s5, s17
	global_load_ubyte v2, v26, s[20:21]
	s_add_u32 s16, s16, 1
	s_addc_u32 s17, s17, 0
	s_waitcnt vmcnt(0)
	v_and_b32_e32 v25, 0xffff, v2
	v_lshlrev_b64 v[2:3], s14, v[25:26]
	s_add_u32 s14, s14, 8
	s_addc_u32 s15, s15, 0
	v_or_b32_e32 v14, v2, v14
	s_cmp_lg_u32 s18, s16
	v_or_b32_e32 v15, v3, v15
	s_cbranch_scc1 .LBB7_461
	s_branch .LBB7_464
.LBB7_462:                              ;   in Loop: Header=BB7_434 Depth=1
                                        ; implicit-def: $vgpr14_vgpr15
	s_mov_b32 s19, 0
	s_branch .LBB7_465
.LBB7_463:                              ;   in Loop: Header=BB7_434 Depth=1
	v_mov_b32_e32 v14, 0
	v_mov_b32_e32 v15, 0
.LBB7_464:                              ;   in Loop: Header=BB7_434 Depth=1
	s_mov_b64 s[14:15], s[4:5]
	s_mov_b32 s19, 0
	s_cbranch_execnz .LBB7_466
.LBB7_465:                              ;   in Loop: Header=BB7_434 Depth=1
	global_load_dwordx2 v[14:15], v26, s[4:5]
	s_add_i32 s19, s18, -8
.LBB7_466:                              ;   in Loop: Header=BB7_434 Depth=1
	s_add_u32 s4, s14, 8
	s_addc_u32 s5, s15, 0
	s_cmp_gt_u32 s19, 7
	s_cbranch_scc1 .LBB7_470
; %bb.467:                              ;   in Loop: Header=BB7_434 Depth=1
	s_cmp_eq_u32 s19, 0
	s_cbranch_scc1 .LBB7_471
; %bb.468:                              ;   in Loop: Header=BB7_434 Depth=1
	v_mov_b32_e32 v16, 0
	s_mov_b64 s[4:5], 0
	v_mov_b32_e32 v17, 0
	s_mov_b64 s[16:17], 0
.LBB7_469:                              ;   Parent Loop BB7_434 Depth=1
                                        ; =>  This Inner Loop Header: Depth=2
	s_add_u32 s20, s14, s16
	s_addc_u32 s21, s15, s17
	global_load_ubyte v2, v26, s[20:21]
	s_add_u32 s16, s16, 1
	s_addc_u32 s17, s17, 0
	s_waitcnt vmcnt(0)
	v_and_b32_e32 v25, 0xffff, v2
	v_lshlrev_b64 v[2:3], s4, v[25:26]
	s_add_u32 s4, s4, 8
	s_addc_u32 s5, s5, 0
	v_or_b32_e32 v16, v2, v16
	s_cmp_lg_u32 s19, s16
	v_or_b32_e32 v17, v3, v17
	s_cbranch_scc1 .LBB7_469
	s_branch .LBB7_472
.LBB7_470:                              ;   in Loop: Header=BB7_434 Depth=1
	s_mov_b32 s18, 0
	s_branch .LBB7_473
.LBB7_471:                              ;   in Loop: Header=BB7_434 Depth=1
	v_mov_b32_e32 v16, 0
	v_mov_b32_e32 v17, 0
.LBB7_472:                              ;   in Loop: Header=BB7_434 Depth=1
	s_mov_b64 s[4:5], s[14:15]
	s_mov_b32 s18, 0
	s_cbranch_execnz .LBB7_474
.LBB7_473:                              ;   in Loop: Header=BB7_434 Depth=1
	global_load_dwordx2 v[16:17], v26, s[14:15]
	s_add_i32 s18, s19, -8
.LBB7_474:                              ;   in Loop: Header=BB7_434 Depth=1
	s_add_u32 s14, s4, 8
	s_addc_u32 s15, s5, 0
	s_cmp_gt_u32 s18, 7
	s_cbranch_scc1 .LBB7_478
; %bb.475:                              ;   in Loop: Header=BB7_434 Depth=1
	s_cmp_eq_u32 s18, 0
	s_cbranch_scc1 .LBB7_479
; %bb.476:                              ;   in Loop: Header=BB7_434 Depth=1
	v_mov_b32_e32 v18, 0
	s_mov_b64 s[14:15], 0
	v_mov_b32_e32 v19, 0
	s_mov_b64 s[16:17], 0
.LBB7_477:                              ;   Parent Loop BB7_434 Depth=1
                                        ; =>  This Inner Loop Header: Depth=2
	s_add_u32 s20, s4, s16
	s_addc_u32 s21, s5, s17
	global_load_ubyte v2, v26, s[20:21]
	s_add_u32 s16, s16, 1
	s_addc_u32 s17, s17, 0
	s_waitcnt vmcnt(0)
	v_and_b32_e32 v25, 0xffff, v2
	v_lshlrev_b64 v[2:3], s14, v[25:26]
	s_add_u32 s14, s14, 8
	s_addc_u32 s15, s15, 0
	v_or_b32_e32 v18, v2, v18
	s_cmp_lg_u32 s18, s16
	v_or_b32_e32 v19, v3, v19
	s_cbranch_scc1 .LBB7_477
	s_branch .LBB7_480
.LBB7_478:                              ;   in Loop: Header=BB7_434 Depth=1
                                        ; implicit-def: $vgpr18_vgpr19
	s_mov_b32 s19, 0
	s_branch .LBB7_481
.LBB7_479:                              ;   in Loop: Header=BB7_434 Depth=1
	v_mov_b32_e32 v18, 0
	v_mov_b32_e32 v19, 0
.LBB7_480:                              ;   in Loop: Header=BB7_434 Depth=1
	s_mov_b64 s[14:15], s[4:5]
	s_mov_b32 s19, 0
	s_cbranch_execnz .LBB7_482
.LBB7_481:                              ;   in Loop: Header=BB7_434 Depth=1
	global_load_dwordx2 v[18:19], v26, s[4:5]
	s_add_i32 s19, s18, -8
.LBB7_482:                              ;   in Loop: Header=BB7_434 Depth=1
	s_cmp_gt_u32 s19, 7
	s_cbranch_scc1 .LBB7_486
; %bb.483:                              ;   in Loop: Header=BB7_434 Depth=1
	s_cmp_eq_u32 s19, 0
	s_cbranch_scc1 .LBB7_487
; %bb.484:                              ;   in Loop: Header=BB7_434 Depth=1
	v_mov_b32_e32 v20, 0
	s_mov_b64 s[4:5], 0
	v_mov_b32_e32 v21, 0
	s_mov_b64 s[16:17], s[14:15]
.LBB7_485:                              ;   Parent Loop BB7_434 Depth=1
                                        ; =>  This Inner Loop Header: Depth=2
	global_load_ubyte v2, v26, s[16:17]
	s_add_i32 s19, s19, -1
	s_waitcnt vmcnt(0)
	v_and_b32_e32 v25, 0xffff, v2
	v_lshlrev_b64 v[2:3], s4, v[25:26]
	s_add_u32 s4, s4, 8
	s_addc_u32 s5, s5, 0
	s_add_u32 s16, s16, 1
	s_addc_u32 s17, s17, 0
	v_or_b32_e32 v20, v2, v20
	s_cmp_lg_u32 s19, 0
	v_or_b32_e32 v21, v3, v21
	s_cbranch_scc1 .LBB7_485
	s_branch .LBB7_488
.LBB7_486:                              ;   in Loop: Header=BB7_434 Depth=1
	s_branch .LBB7_489
.LBB7_487:                              ;   in Loop: Header=BB7_434 Depth=1
	v_mov_b32_e32 v20, 0
	v_mov_b32_e32 v21, 0
.LBB7_488:                              ;   in Loop: Header=BB7_434 Depth=1
	s_cbranch_execnz .LBB7_490
.LBB7_489:                              ;   in Loop: Header=BB7_434 Depth=1
	global_load_dwordx2 v[20:21], v26, s[14:15]
.LBB7_490:                              ;   in Loop: Header=BB7_434 Depth=1
	v_readfirstlane_b32 s4, v30
	v_mov_b32_e32 v2, 0
	v_mov_b32_e32 v3, 0
	v_cmp_eq_u32_e64 s[4:5], s4, v30
	s_and_saveexec_b64 s[14:15], s[4:5]
	s_cbranch_execz .LBB7_496
; %bb.491:                              ;   in Loop: Header=BB7_434 Depth=1
	global_load_dwordx2 v[24:25], v26, s[6:7] offset:24 glc
	s_waitcnt vmcnt(0)
	buffer_wbinvl1_vol
	global_load_dwordx2 v[2:3], v26, s[6:7] offset:40
	global_load_dwordx2 v[22:23], v26, s[6:7]
	s_waitcnt vmcnt(1)
	v_and_b32_e32 v2, v2, v24
	v_and_b32_e32 v3, v3, v25
	v_mul_lo_u32 v3, v3, 24
	v_mul_hi_u32 v27, v2, 24
	v_mul_lo_u32 v2, v2, 24
	v_add_u32_e32 v3, v27, v3
	s_waitcnt vmcnt(0)
	v_add_co_u32_e32 v2, vcc, v22, v2
	v_addc_co_u32_e32 v3, vcc, v23, v3, vcc
	global_load_dwordx2 v[22:23], v[2:3], off glc
	s_waitcnt vmcnt(0)
	global_atomic_cmpswap_x2 v[2:3], v26, v[22:25], s[6:7] offset:24 glc
	s_waitcnt vmcnt(0)
	buffer_wbinvl1_vol
	v_cmp_ne_u64_e32 vcc, v[2:3], v[24:25]
	s_and_saveexec_b64 s[16:17], vcc
	s_cbranch_execz .LBB7_495
; %bb.492:                              ;   in Loop: Header=BB7_434 Depth=1
	s_mov_b64 s[18:19], 0
.LBB7_493:                              ;   Parent Loop BB7_434 Depth=1
                                        ; =>  This Inner Loop Header: Depth=2
	s_sleep 1
	global_load_dwordx2 v[22:23], v26, s[6:7] offset:40
	global_load_dwordx2 v[27:28], v26, s[6:7]
	v_mov_b32_e32 v25, v3
	v_mov_b32_e32 v24, v2
	s_waitcnt vmcnt(1)
	v_and_b32_e32 v2, v22, v24
	s_waitcnt vmcnt(0)
	v_mad_u64_u32 v[2:3], s[20:21], v2, 24, v[27:28]
	v_and_b32_e32 v22, v23, v25
	v_mad_u64_u32 v[22:23], s[20:21], v22, 24, v[3:4]
	v_mov_b32_e32 v3, v22
	global_load_dwordx2 v[22:23], v[2:3], off glc
	s_waitcnt vmcnt(0)
	global_atomic_cmpswap_x2 v[2:3], v26, v[22:25], s[6:7] offset:24 glc
	s_waitcnt vmcnt(0)
	buffer_wbinvl1_vol
	v_cmp_eq_u64_e32 vcc, v[2:3], v[24:25]
	s_or_b64 s[18:19], vcc, s[18:19]
	s_andn2_b64 exec, exec, s[18:19]
	s_cbranch_execnz .LBB7_493
; %bb.494:                              ;   in Loop: Header=BB7_434 Depth=1
	s_or_b64 exec, exec, s[18:19]
.LBB7_495:                              ;   in Loop: Header=BB7_434 Depth=1
	s_or_b64 exec, exec, s[16:17]
.LBB7_496:                              ;   in Loop: Header=BB7_434 Depth=1
	s_or_b64 exec, exec, s[14:15]
	global_load_dwordx2 v[27:28], v26, s[6:7] offset:40
	global_load_dwordx4 v[22:25], v26, s[6:7]
	v_readfirstlane_b32 s15, v3
	v_readfirstlane_b32 s14, v2
	s_mov_b64 s[16:17], exec
	s_waitcnt vmcnt(1)
	v_readfirstlane_b32 s18, v27
	v_readfirstlane_b32 s19, v28
	s_and_b64 s[18:19], s[18:19], s[14:15]
	s_mul_i32 s20, s19, 24
	s_mul_hi_u32 s21, s18, 24
	s_mul_i32 s22, s18, 24
	s_add_i32 s20, s21, s20
	v_mov_b32_e32 v2, s20
	s_waitcnt vmcnt(0)
	v_add_co_u32_e32 v27, vcc, s22, v22
	v_addc_co_u32_e32 v28, vcc, v23, v2, vcc
	s_and_saveexec_b64 s[20:21], s[4:5]
	s_cbranch_execz .LBB7_498
; %bb.497:                              ;   in Loop: Header=BB7_434 Depth=1
	v_mov_b32_e32 v2, s16
	v_mov_b32_e32 v3, s17
	global_store_dwordx4 v[27:28], v[2:5], off offset:8
.LBB7_498:                              ;   in Loop: Header=BB7_434 Depth=1
	s_or_b64 exec, exec, s[20:21]
	s_lshl_b64 s[16:17], s[18:19], 12
	v_cmp_gt_u64_e64 s[18:19], s[10:11], 56
	v_mov_b32_e32 v2, s17
	v_add_co_u32_e32 v24, vcc, s16, v24
	s_and_b64 s[16:17], s[18:19], exec
	s_cselect_b32 s16, 0, 2
	s_lshl_b32 s17, s12, 2
	v_addc_co_u32_e32 v31, vcc, v25, v2, vcc
	s_add_i32 s17, s17, 28
	v_and_b32_e32 v2, 0xffffff1f, v6
	s_and_b32 s17, s17, 0x1e0
	v_or_b32_e32 v2, s16, v2
	v_or_b32_e32 v6, s17, v2
	v_readfirstlane_b32 s16, v24
	v_readfirstlane_b32 s17, v31
	s_nop 4
	global_store_dwordx4 v29, v[6:9], s[16:17]
	global_store_dwordx4 v29, v[10:13], s[16:17] offset:16
	global_store_dwordx4 v29, v[14:17], s[16:17] offset:32
	global_store_dwordx4 v29, v[18:21], s[16:17] offset:48
	s_and_saveexec_b64 s[16:17], s[4:5]
	s_cbranch_execz .LBB7_506
; %bb.499:                              ;   in Loop: Header=BB7_434 Depth=1
	global_load_dwordx2 v[10:11], v26, s[6:7] offset:32 glc
	global_load_dwordx2 v[2:3], v26, s[6:7] offset:40
	v_mov_b32_e32 v8, s14
	v_mov_b32_e32 v9, s15
	s_waitcnt vmcnt(0)
	v_readfirstlane_b32 s18, v2
	v_readfirstlane_b32 s19, v3
	s_and_b64 s[18:19], s[18:19], s[14:15]
	s_mul_i32 s19, s19, 24
	s_mul_hi_u32 s20, s18, 24
	s_mul_i32 s18, s18, 24
	s_add_i32 s19, s20, s19
	v_mov_b32_e32 v3, s19
	v_add_co_u32_e32 v2, vcc, s18, v22
	v_addc_co_u32_e32 v3, vcc, v23, v3, vcc
	global_store_dwordx2 v[2:3], v[10:11], off
	s_waitcnt vmcnt(0)
	global_atomic_cmpswap_x2 v[8:9], v26, v[8:11], s[6:7] offset:32 glc
	s_waitcnt vmcnt(0)
	v_cmp_ne_u64_e32 vcc, v[8:9], v[10:11]
	s_and_saveexec_b64 s[18:19], vcc
	s_cbranch_execz .LBB7_502
; %bb.500:                              ;   in Loop: Header=BB7_434 Depth=1
	s_mov_b64 s[20:21], 0
.LBB7_501:                              ;   Parent Loop BB7_434 Depth=1
                                        ; =>  This Inner Loop Header: Depth=2
	s_sleep 1
	global_store_dwordx2 v[2:3], v[8:9], off
	v_mov_b32_e32 v6, s14
	v_mov_b32_e32 v7, s15
	s_waitcnt vmcnt(0)
	global_atomic_cmpswap_x2 v[6:7], v26, v[6:9], s[6:7] offset:32 glc
	s_waitcnt vmcnt(0)
	v_cmp_eq_u64_e32 vcc, v[6:7], v[8:9]
	v_mov_b32_e32 v9, v7
	s_or_b64 s[20:21], vcc, s[20:21]
	v_mov_b32_e32 v8, v6
	s_andn2_b64 exec, exec, s[20:21]
	s_cbranch_execnz .LBB7_501
.LBB7_502:                              ;   in Loop: Header=BB7_434 Depth=1
	s_or_b64 exec, exec, s[18:19]
	global_load_dwordx2 v[2:3], v26, s[6:7] offset:16
	s_mov_b64 s[20:21], exec
	v_mbcnt_lo_u32_b32 v6, s20, 0
	v_mbcnt_hi_u32_b32 v6, s21, v6
	v_cmp_eq_u32_e32 vcc, 0, v6
	s_and_saveexec_b64 s[18:19], vcc
	s_cbranch_execz .LBB7_504
; %bb.503:                              ;   in Loop: Header=BB7_434 Depth=1
	s_bcnt1_i32_b64 s20, s[20:21]
	v_mov_b32_e32 v25, s20
	s_waitcnt vmcnt(0)
	global_atomic_add_x2 v[2:3], v[25:26], off offset:8
.LBB7_504:                              ;   in Loop: Header=BB7_434 Depth=1
	s_or_b64 exec, exec, s[18:19]
	s_waitcnt vmcnt(0)
	global_load_dwordx2 v[6:7], v[2:3], off offset:16
	s_waitcnt vmcnt(0)
	v_cmp_eq_u64_e32 vcc, 0, v[6:7]
	s_cbranch_vccnz .LBB7_506
; %bb.505:                              ;   in Loop: Header=BB7_434 Depth=1
	global_load_dword v25, v[2:3], off offset:24
	s_waitcnt vmcnt(0)
	v_readfirstlane_b32 s18, v25
	s_and_b32 m0, s18, 0xffffff
	global_store_dwordx2 v[6:7], v[25:26], off
	s_sendmsg sendmsg(MSG_INTERRUPT)
.LBB7_506:                              ;   in Loop: Header=BB7_434 Depth=1
	s_or_b64 exec, exec, s[16:17]
	v_add_co_u32_e32 v2, vcc, v24, v29
	v_addc_co_u32_e32 v3, vcc, 0, v31, vcc
	s_branch .LBB7_510
.LBB7_507:                              ;   in Loop: Header=BB7_510 Depth=2
	s_or_b64 exec, exec, s[16:17]
	v_readfirstlane_b32 s16, v6
	s_cmp_eq_u32 s16, 0
	s_cbranch_scc1 .LBB7_509
; %bb.508:                              ;   in Loop: Header=BB7_510 Depth=2
	s_sleep 1
	s_cbranch_execnz .LBB7_510
	s_branch .LBB7_512
.LBB7_509:                              ;   in Loop: Header=BB7_434 Depth=1
	s_branch .LBB7_512
.LBB7_510:                              ;   Parent Loop BB7_434 Depth=1
                                        ; =>  This Inner Loop Header: Depth=2
	v_mov_b32_e32 v6, 1
	s_and_saveexec_b64 s[16:17], s[4:5]
	s_cbranch_execz .LBB7_507
; %bb.511:                              ;   in Loop: Header=BB7_510 Depth=2
	global_load_dword v6, v[27:28], off offset:20 glc
	s_waitcnt vmcnt(0)
	buffer_wbinvl1_vol
	v_and_b32_e32 v6, 1, v6
	s_branch .LBB7_507
.LBB7_512:                              ;   in Loop: Header=BB7_434 Depth=1
	global_load_dwordx4 v[6:9], v[2:3], off
	s_and_saveexec_b64 s[16:17], s[4:5]
	s_cbranch_execz .LBB7_433
; %bb.513:                              ;   in Loop: Header=BB7_434 Depth=1
	global_load_dwordx2 v[2:3], v26, s[6:7] offset:40
	global_load_dwordx2 v[12:13], v26, s[6:7] offset:24 glc
	global_load_dwordx2 v[8:9], v26, s[6:7]
	s_waitcnt vmcnt(2)
	v_readfirstlane_b32 s18, v2
	v_readfirstlane_b32 s19, v3
	s_add_u32 s20, s18, 1
	s_addc_u32 s21, s19, 0
	s_add_u32 s4, s20, s14
	s_addc_u32 s5, s21, s15
	s_cmp_eq_u64 s[4:5], 0
	s_cselect_b32 s5, s21, s5
	s_cselect_b32 s4, s20, s4
	s_and_b64 s[14:15], s[4:5], s[18:19]
	s_mul_i32 s15, s15, 24
	s_mul_hi_u32 s18, s14, 24
	s_mul_i32 s14, s14, 24
	s_add_i32 s15, s18, s15
	v_mov_b32_e32 v3, s15
	s_waitcnt vmcnt(0)
	v_add_co_u32_e32 v2, vcc, s14, v8
	v_addc_co_u32_e32 v3, vcc, v9, v3, vcc
	v_mov_b32_e32 v10, s4
	global_store_dwordx2 v[2:3], v[12:13], off
	v_mov_b32_e32 v11, s5
	s_waitcnt vmcnt(0)
	global_atomic_cmpswap_x2 v[10:11], v26, v[10:13], s[6:7] offset:24 glc
	s_waitcnt vmcnt(0)
	v_cmp_ne_u64_e32 vcc, v[10:11], v[12:13]
	s_and_b64 exec, exec, vcc
	s_cbranch_execz .LBB7_433
; %bb.514:                              ;   in Loop: Header=BB7_434 Depth=1
	s_mov_b64 s[14:15], 0
.LBB7_515:                              ;   Parent Loop BB7_434 Depth=1
                                        ; =>  This Inner Loop Header: Depth=2
	s_sleep 1
	global_store_dwordx2 v[2:3], v[10:11], off
	v_mov_b32_e32 v8, s4
	v_mov_b32_e32 v9, s5
	s_waitcnt vmcnt(0)
	global_atomic_cmpswap_x2 v[8:9], v26, v[8:11], s[6:7] offset:24 glc
	s_waitcnt vmcnt(0)
	v_cmp_eq_u64_e32 vcc, v[8:9], v[10:11]
	v_mov_b32_e32 v11, v9
	s_or_b64 s[14:15], vcc, s[14:15]
	v_mov_b32_e32 v10, v8
	s_andn2_b64 exec, exec, s[14:15]
	s_cbranch_execnz .LBB7_515
	s_branch .LBB7_433
.LBB7_516:
	global_load_dwordx2 v[0:1], v[9:10], off
	s_and_saveexec_b64 s[10:11], s[4:5]
	s_cbranch_execz .LBB7_519
; %bb.517:
	v_mov_b32_e32 v8, 0
	global_load_dwordx2 v[2:3], v8, s[6:7] offset:40
	global_load_dwordx2 v[11:12], v8, s[6:7] offset:24 glc
	global_load_dwordx2 v[4:5], v8, s[6:7]
	s_waitcnt vmcnt(2)
	v_readfirstlane_b32 s12, v2
	v_readfirstlane_b32 s13, v3
	s_add_u32 s14, s12, 1
	s_addc_u32 s15, s13, 0
	s_add_u32 s4, s14, s8
	s_addc_u32 s5, s15, s9
	s_cmp_eq_u64 s[4:5], 0
	s_cselect_b32 s5, s15, s5
	s_cselect_b32 s4, s14, s4
	s_and_b64 s[8:9], s[4:5], s[12:13]
	s_mul_i32 s9, s9, 24
	s_mul_hi_u32 s12, s8, 24
	s_mul_i32 s8, s8, 24
	s_add_i32 s9, s12, s9
	v_mov_b32_e32 v2, s9
	s_waitcnt vmcnt(0)
	v_add_co_u32_e32 v6, vcc, s8, v4
	v_addc_co_u32_e32 v7, vcc, v5, v2, vcc
	v_mov_b32_e32 v9, s4
	global_store_dwordx2 v[6:7], v[11:12], off
	v_mov_b32_e32 v10, s5
	s_waitcnt vmcnt(0)
	global_atomic_cmpswap_x2 v[4:5], v8, v[9:12], s[6:7] offset:24 glc
	s_mov_b64 s[8:9], 0
	s_waitcnt vmcnt(0)
	v_cmp_ne_u64_e32 vcc, v[4:5], v[11:12]
	s_and_b64 exec, exec, vcc
	s_cbranch_execz .LBB7_519
.LBB7_518:                              ; =>This Inner Loop Header: Depth=1
	s_sleep 1
	global_store_dwordx2 v[6:7], v[4:5], off
	v_mov_b32_e32 v2, s4
	v_mov_b32_e32 v3, s5
	s_waitcnt vmcnt(0)
	global_atomic_cmpswap_x2 v[2:3], v8, v[2:5], s[6:7] offset:24 glc
	s_waitcnt vmcnt(0)
	v_cmp_eq_u64_e32 vcc, v[2:3], v[4:5]
	v_mov_b32_e32 v5, v3
	s_or_b64 s[8:9], vcc, s[8:9]
	v_mov_b32_e32 v4, v2
	s_andn2_b64 exec, exec, s[8:9]
	s_cbranch_execnz .LBB7_518
.LBB7_519:
	s_or_b64 exec, exec, s[10:11]
	s_getpc_b64 s[8:9]
	s_add_u32 s8, s8, .str.28@rel32@lo+4
	s_addc_u32 s9, s9, .str.28@rel32@hi+12
	s_cmp_lg_u64 s[8:9], 0
	s_cbranch_scc0 .LBB7_725
; %bb.520:
	s_waitcnt vmcnt(0)
	v_and_b32_e32 v6, -3, v0
	v_mov_b32_e32 v7, v1
	s_mov_b64 s[10:11], 35
	v_mov_b32_e32 v26, 0
	v_mov_b32_e32 v4, 2
	;; [unrolled: 1-line block ×3, first 2 shown]
	s_branch .LBB7_522
.LBB7_521:                              ;   in Loop: Header=BB7_522 Depth=1
	s_or_b64 exec, exec, s[16:17]
	s_sub_u32 s10, s10, s12
	s_subb_u32 s11, s11, s13
	s_add_u32 s8, s8, s12
	s_addc_u32 s9, s9, s13
	s_cmp_lg_u64 s[10:11], 0
	s_cbranch_scc0 .LBB7_693
.LBB7_522:                              ; =>This Loop Header: Depth=1
                                        ;     Child Loop BB7_525 Depth 2
                                        ;     Child Loop BB7_533 Depth 2
	;; [unrolled: 1-line block ×11, first 2 shown]
	v_cmp_lt_u64_e64 s[4:5], s[10:11], 56
	v_cmp_gt_u64_e64 s[14:15], s[10:11], 7
	s_and_b64 s[4:5], s[4:5], exec
	s_cselect_b32 s13, s11, 0
	s_cselect_b32 s12, s10, 56
	s_add_u32 s4, s8, 8
	s_addc_u32 s5, s9, 0
	s_and_b64 vcc, exec, s[14:15]
	s_cbranch_vccnz .LBB7_526
; %bb.523:                              ;   in Loop: Header=BB7_522 Depth=1
	s_cmp_eq_u64 s[10:11], 0
	s_cbranch_scc1 .LBB7_527
; %bb.524:                              ;   in Loop: Header=BB7_522 Depth=1
	s_waitcnt vmcnt(0)
	v_mov_b32_e32 v8, 0
	s_lshl_b64 s[4:5], s[12:13], 3
	s_mov_b64 s[14:15], 0
	v_mov_b32_e32 v9, 0
	s_mov_b64 s[16:17], s[8:9]
.LBB7_525:                              ;   Parent Loop BB7_522 Depth=1
                                        ; =>  This Inner Loop Header: Depth=2
	global_load_ubyte v2, v26, s[16:17]
	s_waitcnt vmcnt(0)
	v_and_b32_e32 v25, 0xffff, v2
	v_lshlrev_b64 v[2:3], s14, v[25:26]
	s_add_u32 s14, s14, 8
	s_addc_u32 s15, s15, 0
	s_add_u32 s16, s16, 1
	s_addc_u32 s17, s17, 0
	v_or_b32_e32 v8, v2, v8
	s_cmp_lg_u32 s4, s14
	v_or_b32_e32 v9, v3, v9
	s_cbranch_scc1 .LBB7_525
	s_branch .LBB7_528
.LBB7_526:                              ;   in Loop: Header=BB7_522 Depth=1
	s_mov_b32 s18, 0
	s_branch .LBB7_529
.LBB7_527:                              ;   in Loop: Header=BB7_522 Depth=1
	s_waitcnt vmcnt(0)
	v_mov_b32_e32 v8, 0
	v_mov_b32_e32 v9, 0
.LBB7_528:                              ;   in Loop: Header=BB7_522 Depth=1
	s_mov_b64 s[4:5], s[8:9]
	s_mov_b32 s18, 0
	s_cbranch_execnz .LBB7_530
.LBB7_529:                              ;   in Loop: Header=BB7_522 Depth=1
	global_load_dwordx2 v[8:9], v26, s[8:9]
	s_add_i32 s18, s12, -8
.LBB7_530:                              ;   in Loop: Header=BB7_522 Depth=1
	s_add_u32 s14, s4, 8
	s_addc_u32 s15, s5, 0
	s_cmp_gt_u32 s18, 7
	s_cbranch_scc1 .LBB7_534
; %bb.531:                              ;   in Loop: Header=BB7_522 Depth=1
	s_cmp_eq_u32 s18, 0
	s_cbranch_scc1 .LBB7_535
; %bb.532:                              ;   in Loop: Header=BB7_522 Depth=1
	v_mov_b32_e32 v10, 0
	s_mov_b64 s[14:15], 0
	v_mov_b32_e32 v11, 0
	s_mov_b64 s[16:17], 0
.LBB7_533:                              ;   Parent Loop BB7_522 Depth=1
                                        ; =>  This Inner Loop Header: Depth=2
	s_add_u32 s20, s4, s16
	s_addc_u32 s21, s5, s17
	global_load_ubyte v2, v26, s[20:21]
	s_add_u32 s16, s16, 1
	s_addc_u32 s17, s17, 0
	s_waitcnt vmcnt(0)
	v_and_b32_e32 v25, 0xffff, v2
	v_lshlrev_b64 v[2:3], s14, v[25:26]
	s_add_u32 s14, s14, 8
	s_addc_u32 s15, s15, 0
	v_or_b32_e32 v10, v2, v10
	s_cmp_lg_u32 s18, s16
	v_or_b32_e32 v11, v3, v11
	s_cbranch_scc1 .LBB7_533
	s_branch .LBB7_536
.LBB7_534:                              ;   in Loop: Header=BB7_522 Depth=1
                                        ; implicit-def: $vgpr10_vgpr11
	s_mov_b32 s19, 0
	s_branch .LBB7_537
.LBB7_535:                              ;   in Loop: Header=BB7_522 Depth=1
	v_mov_b32_e32 v10, 0
	v_mov_b32_e32 v11, 0
.LBB7_536:                              ;   in Loop: Header=BB7_522 Depth=1
	s_mov_b64 s[14:15], s[4:5]
	s_mov_b32 s19, 0
	s_cbranch_execnz .LBB7_538
.LBB7_537:                              ;   in Loop: Header=BB7_522 Depth=1
	global_load_dwordx2 v[10:11], v26, s[4:5]
	s_add_i32 s19, s18, -8
.LBB7_538:                              ;   in Loop: Header=BB7_522 Depth=1
	s_add_u32 s4, s14, 8
	s_addc_u32 s5, s15, 0
	s_cmp_gt_u32 s19, 7
	s_cbranch_scc1 .LBB7_542
; %bb.539:                              ;   in Loop: Header=BB7_522 Depth=1
	s_cmp_eq_u32 s19, 0
	s_cbranch_scc1 .LBB7_543
; %bb.540:                              ;   in Loop: Header=BB7_522 Depth=1
	v_mov_b32_e32 v12, 0
	s_mov_b64 s[4:5], 0
	v_mov_b32_e32 v13, 0
	s_mov_b64 s[16:17], 0
.LBB7_541:                              ;   Parent Loop BB7_522 Depth=1
                                        ; =>  This Inner Loop Header: Depth=2
	s_add_u32 s20, s14, s16
	s_addc_u32 s21, s15, s17
	global_load_ubyte v2, v26, s[20:21]
	s_add_u32 s16, s16, 1
	s_addc_u32 s17, s17, 0
	s_waitcnt vmcnt(0)
	v_and_b32_e32 v25, 0xffff, v2
	v_lshlrev_b64 v[2:3], s4, v[25:26]
	s_add_u32 s4, s4, 8
	s_addc_u32 s5, s5, 0
	v_or_b32_e32 v12, v2, v12
	s_cmp_lg_u32 s19, s16
	v_or_b32_e32 v13, v3, v13
	s_cbranch_scc1 .LBB7_541
	s_branch .LBB7_544
.LBB7_542:                              ;   in Loop: Header=BB7_522 Depth=1
	s_mov_b32 s18, 0
	s_branch .LBB7_545
.LBB7_543:                              ;   in Loop: Header=BB7_522 Depth=1
	v_mov_b32_e32 v12, 0
	v_mov_b32_e32 v13, 0
.LBB7_544:                              ;   in Loop: Header=BB7_522 Depth=1
	s_mov_b64 s[4:5], s[14:15]
	s_mov_b32 s18, 0
	s_cbranch_execnz .LBB7_546
.LBB7_545:                              ;   in Loop: Header=BB7_522 Depth=1
	global_load_dwordx2 v[12:13], v26, s[14:15]
	s_add_i32 s18, s19, -8
.LBB7_546:                              ;   in Loop: Header=BB7_522 Depth=1
	s_add_u32 s14, s4, 8
	s_addc_u32 s15, s5, 0
	s_cmp_gt_u32 s18, 7
	s_cbranch_scc1 .LBB7_550
; %bb.547:                              ;   in Loop: Header=BB7_522 Depth=1
	s_cmp_eq_u32 s18, 0
	s_cbranch_scc1 .LBB7_551
; %bb.548:                              ;   in Loop: Header=BB7_522 Depth=1
	v_mov_b32_e32 v14, 0
	s_mov_b64 s[14:15], 0
	v_mov_b32_e32 v15, 0
	s_mov_b64 s[16:17], 0
.LBB7_549:                              ;   Parent Loop BB7_522 Depth=1
                                        ; =>  This Inner Loop Header: Depth=2
	s_add_u32 s20, s4, s16
	s_addc_u32 s21, s5, s17
	global_load_ubyte v2, v26, s[20:21]
	s_add_u32 s16, s16, 1
	s_addc_u32 s17, s17, 0
	s_waitcnt vmcnt(0)
	v_and_b32_e32 v25, 0xffff, v2
	v_lshlrev_b64 v[2:3], s14, v[25:26]
	s_add_u32 s14, s14, 8
	s_addc_u32 s15, s15, 0
	v_or_b32_e32 v14, v2, v14
	s_cmp_lg_u32 s18, s16
	v_or_b32_e32 v15, v3, v15
	s_cbranch_scc1 .LBB7_549
	s_branch .LBB7_552
.LBB7_550:                              ;   in Loop: Header=BB7_522 Depth=1
                                        ; implicit-def: $vgpr14_vgpr15
	s_mov_b32 s19, 0
	s_branch .LBB7_553
.LBB7_551:                              ;   in Loop: Header=BB7_522 Depth=1
	v_mov_b32_e32 v14, 0
	v_mov_b32_e32 v15, 0
.LBB7_552:                              ;   in Loop: Header=BB7_522 Depth=1
	s_mov_b64 s[14:15], s[4:5]
	s_mov_b32 s19, 0
	s_cbranch_execnz .LBB7_554
.LBB7_553:                              ;   in Loop: Header=BB7_522 Depth=1
	global_load_dwordx2 v[14:15], v26, s[4:5]
	s_add_i32 s19, s18, -8
.LBB7_554:                              ;   in Loop: Header=BB7_522 Depth=1
	s_add_u32 s4, s14, 8
	s_addc_u32 s5, s15, 0
	s_cmp_gt_u32 s19, 7
	s_cbranch_scc1 .LBB7_558
; %bb.555:                              ;   in Loop: Header=BB7_522 Depth=1
	s_cmp_eq_u32 s19, 0
	s_cbranch_scc1 .LBB7_559
; %bb.556:                              ;   in Loop: Header=BB7_522 Depth=1
	v_mov_b32_e32 v16, 0
	s_mov_b64 s[4:5], 0
	v_mov_b32_e32 v17, 0
	s_mov_b64 s[16:17], 0
.LBB7_557:                              ;   Parent Loop BB7_522 Depth=1
                                        ; =>  This Inner Loop Header: Depth=2
	s_add_u32 s20, s14, s16
	s_addc_u32 s21, s15, s17
	global_load_ubyte v2, v26, s[20:21]
	s_add_u32 s16, s16, 1
	s_addc_u32 s17, s17, 0
	s_waitcnt vmcnt(0)
	v_and_b32_e32 v25, 0xffff, v2
	v_lshlrev_b64 v[2:3], s4, v[25:26]
	s_add_u32 s4, s4, 8
	s_addc_u32 s5, s5, 0
	v_or_b32_e32 v16, v2, v16
	s_cmp_lg_u32 s19, s16
	v_or_b32_e32 v17, v3, v17
	s_cbranch_scc1 .LBB7_557
	s_branch .LBB7_560
.LBB7_558:                              ;   in Loop: Header=BB7_522 Depth=1
	s_mov_b32 s18, 0
	s_branch .LBB7_561
.LBB7_559:                              ;   in Loop: Header=BB7_522 Depth=1
	v_mov_b32_e32 v16, 0
	v_mov_b32_e32 v17, 0
.LBB7_560:                              ;   in Loop: Header=BB7_522 Depth=1
	s_mov_b64 s[4:5], s[14:15]
	s_mov_b32 s18, 0
	s_cbranch_execnz .LBB7_562
.LBB7_561:                              ;   in Loop: Header=BB7_522 Depth=1
	global_load_dwordx2 v[16:17], v26, s[14:15]
	s_add_i32 s18, s19, -8
.LBB7_562:                              ;   in Loop: Header=BB7_522 Depth=1
	s_add_u32 s14, s4, 8
	s_addc_u32 s15, s5, 0
	s_cmp_gt_u32 s18, 7
	s_cbranch_scc1 .LBB7_566
; %bb.563:                              ;   in Loop: Header=BB7_522 Depth=1
	s_cmp_eq_u32 s18, 0
	s_cbranch_scc1 .LBB7_567
; %bb.564:                              ;   in Loop: Header=BB7_522 Depth=1
	v_mov_b32_e32 v18, 0
	s_mov_b64 s[14:15], 0
	v_mov_b32_e32 v19, 0
	s_mov_b64 s[16:17], 0
.LBB7_565:                              ;   Parent Loop BB7_522 Depth=1
                                        ; =>  This Inner Loop Header: Depth=2
	s_add_u32 s20, s4, s16
	s_addc_u32 s21, s5, s17
	global_load_ubyte v2, v26, s[20:21]
	s_add_u32 s16, s16, 1
	s_addc_u32 s17, s17, 0
	s_waitcnt vmcnt(0)
	v_and_b32_e32 v25, 0xffff, v2
	v_lshlrev_b64 v[2:3], s14, v[25:26]
	s_add_u32 s14, s14, 8
	s_addc_u32 s15, s15, 0
	v_or_b32_e32 v18, v2, v18
	s_cmp_lg_u32 s18, s16
	v_or_b32_e32 v19, v3, v19
	s_cbranch_scc1 .LBB7_565
	s_branch .LBB7_568
.LBB7_566:                              ;   in Loop: Header=BB7_522 Depth=1
                                        ; implicit-def: $vgpr18_vgpr19
	s_mov_b32 s19, 0
	s_branch .LBB7_569
.LBB7_567:                              ;   in Loop: Header=BB7_522 Depth=1
	v_mov_b32_e32 v18, 0
	v_mov_b32_e32 v19, 0
.LBB7_568:                              ;   in Loop: Header=BB7_522 Depth=1
	s_mov_b64 s[14:15], s[4:5]
	s_mov_b32 s19, 0
	s_cbranch_execnz .LBB7_570
.LBB7_569:                              ;   in Loop: Header=BB7_522 Depth=1
	global_load_dwordx2 v[18:19], v26, s[4:5]
	s_add_i32 s19, s18, -8
.LBB7_570:                              ;   in Loop: Header=BB7_522 Depth=1
	s_cmp_gt_u32 s19, 7
	s_cbranch_scc1 .LBB7_574
; %bb.571:                              ;   in Loop: Header=BB7_522 Depth=1
	s_cmp_eq_u32 s19, 0
	s_cbranch_scc1 .LBB7_575
; %bb.572:                              ;   in Loop: Header=BB7_522 Depth=1
	v_mov_b32_e32 v20, 0
	s_mov_b64 s[4:5], 0
	v_mov_b32_e32 v21, 0
	s_mov_b64 s[16:17], s[14:15]
.LBB7_573:                              ;   Parent Loop BB7_522 Depth=1
                                        ; =>  This Inner Loop Header: Depth=2
	global_load_ubyte v2, v26, s[16:17]
	s_add_i32 s19, s19, -1
	s_waitcnt vmcnt(0)
	v_and_b32_e32 v25, 0xffff, v2
	v_lshlrev_b64 v[2:3], s4, v[25:26]
	s_add_u32 s4, s4, 8
	s_addc_u32 s5, s5, 0
	s_add_u32 s16, s16, 1
	s_addc_u32 s17, s17, 0
	v_or_b32_e32 v20, v2, v20
	s_cmp_lg_u32 s19, 0
	v_or_b32_e32 v21, v3, v21
	s_cbranch_scc1 .LBB7_573
	s_branch .LBB7_576
.LBB7_574:                              ;   in Loop: Header=BB7_522 Depth=1
	s_branch .LBB7_577
.LBB7_575:                              ;   in Loop: Header=BB7_522 Depth=1
	v_mov_b32_e32 v20, 0
	v_mov_b32_e32 v21, 0
.LBB7_576:                              ;   in Loop: Header=BB7_522 Depth=1
	s_cbranch_execnz .LBB7_578
.LBB7_577:                              ;   in Loop: Header=BB7_522 Depth=1
	global_load_dwordx2 v[20:21], v26, s[14:15]
.LBB7_578:                              ;   in Loop: Header=BB7_522 Depth=1
	v_readfirstlane_b32 s4, v30
	v_mov_b32_e32 v2, 0
	v_mov_b32_e32 v3, 0
	v_cmp_eq_u32_e64 s[4:5], s4, v30
	s_and_saveexec_b64 s[14:15], s[4:5]
	s_cbranch_execz .LBB7_584
; %bb.579:                              ;   in Loop: Header=BB7_522 Depth=1
	global_load_dwordx2 v[24:25], v26, s[6:7] offset:24 glc
	s_waitcnt vmcnt(0)
	buffer_wbinvl1_vol
	global_load_dwordx2 v[2:3], v26, s[6:7] offset:40
	global_load_dwordx2 v[22:23], v26, s[6:7]
	s_waitcnt vmcnt(1)
	v_and_b32_e32 v2, v2, v24
	v_and_b32_e32 v3, v3, v25
	v_mul_lo_u32 v3, v3, 24
	v_mul_hi_u32 v27, v2, 24
	v_mul_lo_u32 v2, v2, 24
	v_add_u32_e32 v3, v27, v3
	s_waitcnt vmcnt(0)
	v_add_co_u32_e32 v2, vcc, v22, v2
	v_addc_co_u32_e32 v3, vcc, v23, v3, vcc
	global_load_dwordx2 v[22:23], v[2:3], off glc
	s_waitcnt vmcnt(0)
	global_atomic_cmpswap_x2 v[2:3], v26, v[22:25], s[6:7] offset:24 glc
	s_waitcnt vmcnt(0)
	buffer_wbinvl1_vol
	v_cmp_ne_u64_e32 vcc, v[2:3], v[24:25]
	s_and_saveexec_b64 s[16:17], vcc
	s_cbranch_execz .LBB7_583
; %bb.580:                              ;   in Loop: Header=BB7_522 Depth=1
	s_mov_b64 s[18:19], 0
.LBB7_581:                              ;   Parent Loop BB7_522 Depth=1
                                        ; =>  This Inner Loop Header: Depth=2
	s_sleep 1
	global_load_dwordx2 v[22:23], v26, s[6:7] offset:40
	global_load_dwordx2 v[27:28], v26, s[6:7]
	v_mov_b32_e32 v25, v3
	v_mov_b32_e32 v24, v2
	s_waitcnt vmcnt(1)
	v_and_b32_e32 v2, v22, v24
	s_waitcnt vmcnt(0)
	v_mad_u64_u32 v[2:3], s[20:21], v2, 24, v[27:28]
	v_and_b32_e32 v22, v23, v25
	v_mad_u64_u32 v[22:23], s[20:21], v22, 24, v[3:4]
	v_mov_b32_e32 v3, v22
	global_load_dwordx2 v[22:23], v[2:3], off glc
	s_waitcnt vmcnt(0)
	global_atomic_cmpswap_x2 v[2:3], v26, v[22:25], s[6:7] offset:24 glc
	s_waitcnt vmcnt(0)
	buffer_wbinvl1_vol
	v_cmp_eq_u64_e32 vcc, v[2:3], v[24:25]
	s_or_b64 s[18:19], vcc, s[18:19]
	s_andn2_b64 exec, exec, s[18:19]
	s_cbranch_execnz .LBB7_581
; %bb.582:                              ;   in Loop: Header=BB7_522 Depth=1
	s_or_b64 exec, exec, s[18:19]
.LBB7_583:                              ;   in Loop: Header=BB7_522 Depth=1
	s_or_b64 exec, exec, s[16:17]
.LBB7_584:                              ;   in Loop: Header=BB7_522 Depth=1
	s_or_b64 exec, exec, s[14:15]
	global_load_dwordx2 v[27:28], v26, s[6:7] offset:40
	global_load_dwordx4 v[22:25], v26, s[6:7]
	v_readfirstlane_b32 s15, v3
	v_readfirstlane_b32 s14, v2
	s_mov_b64 s[16:17], exec
	s_waitcnt vmcnt(1)
	v_readfirstlane_b32 s18, v27
	v_readfirstlane_b32 s19, v28
	s_and_b64 s[18:19], s[18:19], s[14:15]
	s_mul_i32 s20, s19, 24
	s_mul_hi_u32 s21, s18, 24
	s_mul_i32 s22, s18, 24
	s_add_i32 s20, s21, s20
	v_mov_b32_e32 v2, s20
	s_waitcnt vmcnt(0)
	v_add_co_u32_e32 v27, vcc, s22, v22
	v_addc_co_u32_e32 v28, vcc, v23, v2, vcc
	s_and_saveexec_b64 s[20:21], s[4:5]
	s_cbranch_execz .LBB7_586
; %bb.585:                              ;   in Loop: Header=BB7_522 Depth=1
	v_mov_b32_e32 v2, s16
	v_mov_b32_e32 v3, s17
	global_store_dwordx4 v[27:28], v[2:5], off offset:8
.LBB7_586:                              ;   in Loop: Header=BB7_522 Depth=1
	s_or_b64 exec, exec, s[20:21]
	s_lshl_b64 s[16:17], s[18:19], 12
	v_cmp_gt_u64_e64 s[18:19], s[10:11], 56
	v_mov_b32_e32 v2, s17
	v_add_co_u32_e32 v24, vcc, s16, v24
	s_and_b64 s[16:17], s[18:19], exec
	s_cselect_b32 s16, 0, 2
	s_lshl_b32 s17, s12, 2
	v_addc_co_u32_e32 v31, vcc, v25, v2, vcc
	s_add_i32 s17, s17, 28
	v_and_b32_e32 v2, 0xffffff1f, v6
	s_and_b32 s17, s17, 0x1e0
	v_or_b32_e32 v2, s16, v2
	v_or_b32_e32 v6, s17, v2
	v_readfirstlane_b32 s16, v24
	v_readfirstlane_b32 s17, v31
	s_nop 4
	global_store_dwordx4 v29, v[6:9], s[16:17]
	global_store_dwordx4 v29, v[10:13], s[16:17] offset:16
	global_store_dwordx4 v29, v[14:17], s[16:17] offset:32
	;; [unrolled: 1-line block ×3, first 2 shown]
	s_and_saveexec_b64 s[16:17], s[4:5]
	s_cbranch_execz .LBB7_594
; %bb.587:                              ;   in Loop: Header=BB7_522 Depth=1
	global_load_dwordx2 v[10:11], v26, s[6:7] offset:32 glc
	global_load_dwordx2 v[2:3], v26, s[6:7] offset:40
	v_mov_b32_e32 v8, s14
	v_mov_b32_e32 v9, s15
	s_waitcnt vmcnt(0)
	v_readfirstlane_b32 s18, v2
	v_readfirstlane_b32 s19, v3
	s_and_b64 s[18:19], s[18:19], s[14:15]
	s_mul_i32 s19, s19, 24
	s_mul_hi_u32 s20, s18, 24
	s_mul_i32 s18, s18, 24
	s_add_i32 s19, s20, s19
	v_mov_b32_e32 v3, s19
	v_add_co_u32_e32 v2, vcc, s18, v22
	v_addc_co_u32_e32 v3, vcc, v23, v3, vcc
	global_store_dwordx2 v[2:3], v[10:11], off
	s_waitcnt vmcnt(0)
	global_atomic_cmpswap_x2 v[8:9], v26, v[8:11], s[6:7] offset:32 glc
	s_waitcnt vmcnt(0)
	v_cmp_ne_u64_e32 vcc, v[8:9], v[10:11]
	s_and_saveexec_b64 s[18:19], vcc
	s_cbranch_execz .LBB7_590
; %bb.588:                              ;   in Loop: Header=BB7_522 Depth=1
	s_mov_b64 s[20:21], 0
.LBB7_589:                              ;   Parent Loop BB7_522 Depth=1
                                        ; =>  This Inner Loop Header: Depth=2
	s_sleep 1
	global_store_dwordx2 v[2:3], v[8:9], off
	v_mov_b32_e32 v6, s14
	v_mov_b32_e32 v7, s15
	s_waitcnt vmcnt(0)
	global_atomic_cmpswap_x2 v[6:7], v26, v[6:9], s[6:7] offset:32 glc
	s_waitcnt vmcnt(0)
	v_cmp_eq_u64_e32 vcc, v[6:7], v[8:9]
	v_mov_b32_e32 v9, v7
	s_or_b64 s[20:21], vcc, s[20:21]
	v_mov_b32_e32 v8, v6
	s_andn2_b64 exec, exec, s[20:21]
	s_cbranch_execnz .LBB7_589
.LBB7_590:                              ;   in Loop: Header=BB7_522 Depth=1
	s_or_b64 exec, exec, s[18:19]
	global_load_dwordx2 v[2:3], v26, s[6:7] offset:16
	s_mov_b64 s[20:21], exec
	v_mbcnt_lo_u32_b32 v6, s20, 0
	v_mbcnt_hi_u32_b32 v6, s21, v6
	v_cmp_eq_u32_e32 vcc, 0, v6
	s_and_saveexec_b64 s[18:19], vcc
	s_cbranch_execz .LBB7_592
; %bb.591:                              ;   in Loop: Header=BB7_522 Depth=1
	s_bcnt1_i32_b64 s20, s[20:21]
	v_mov_b32_e32 v25, s20
	s_waitcnt vmcnt(0)
	global_atomic_add_x2 v[2:3], v[25:26], off offset:8
.LBB7_592:                              ;   in Loop: Header=BB7_522 Depth=1
	s_or_b64 exec, exec, s[18:19]
	s_waitcnt vmcnt(0)
	global_load_dwordx2 v[6:7], v[2:3], off offset:16
	s_waitcnt vmcnt(0)
	v_cmp_eq_u64_e32 vcc, 0, v[6:7]
	s_cbranch_vccnz .LBB7_594
; %bb.593:                              ;   in Loop: Header=BB7_522 Depth=1
	global_load_dword v25, v[2:3], off offset:24
	s_waitcnt vmcnt(0)
	v_readfirstlane_b32 s18, v25
	s_and_b32 m0, s18, 0xffffff
	global_store_dwordx2 v[6:7], v[25:26], off
	s_sendmsg sendmsg(MSG_INTERRUPT)
.LBB7_594:                              ;   in Loop: Header=BB7_522 Depth=1
	s_or_b64 exec, exec, s[16:17]
	v_add_co_u32_e32 v2, vcc, v24, v29
	v_addc_co_u32_e32 v3, vcc, 0, v31, vcc
	s_branch .LBB7_598
.LBB7_595:                              ;   in Loop: Header=BB7_598 Depth=2
	s_or_b64 exec, exec, s[16:17]
	v_readfirstlane_b32 s16, v6
	s_cmp_eq_u32 s16, 0
	s_cbranch_scc1 .LBB7_597
; %bb.596:                              ;   in Loop: Header=BB7_598 Depth=2
	s_sleep 1
	s_cbranch_execnz .LBB7_598
	s_branch .LBB7_600
.LBB7_597:                              ;   in Loop: Header=BB7_522 Depth=1
	s_branch .LBB7_600
.LBB7_598:                              ;   Parent Loop BB7_522 Depth=1
                                        ; =>  This Inner Loop Header: Depth=2
	v_mov_b32_e32 v6, 1
	s_and_saveexec_b64 s[16:17], s[4:5]
	s_cbranch_execz .LBB7_595
; %bb.599:                              ;   in Loop: Header=BB7_598 Depth=2
	global_load_dword v6, v[27:28], off offset:20 glc
	s_waitcnt vmcnt(0)
	buffer_wbinvl1_vol
	v_and_b32_e32 v6, 1, v6
	s_branch .LBB7_595
.LBB7_600:                              ;   in Loop: Header=BB7_522 Depth=1
	global_load_dwordx4 v[6:9], v[2:3], off
	s_and_saveexec_b64 s[16:17], s[4:5]
	s_cbranch_execz .LBB7_521
; %bb.601:                              ;   in Loop: Header=BB7_522 Depth=1
	global_load_dwordx2 v[2:3], v26, s[6:7] offset:40
	global_load_dwordx2 v[12:13], v26, s[6:7] offset:24 glc
	global_load_dwordx2 v[8:9], v26, s[6:7]
	s_waitcnt vmcnt(2)
	v_readfirstlane_b32 s18, v2
	v_readfirstlane_b32 s19, v3
	s_add_u32 s20, s18, 1
	s_addc_u32 s21, s19, 0
	s_add_u32 s4, s20, s14
	s_addc_u32 s5, s21, s15
	s_cmp_eq_u64 s[4:5], 0
	s_cselect_b32 s5, s21, s5
	s_cselect_b32 s4, s20, s4
	s_and_b64 s[14:15], s[4:5], s[18:19]
	s_mul_i32 s15, s15, 24
	s_mul_hi_u32 s18, s14, 24
	s_mul_i32 s14, s14, 24
	s_add_i32 s15, s18, s15
	v_mov_b32_e32 v3, s15
	s_waitcnt vmcnt(0)
	v_add_co_u32_e32 v2, vcc, s14, v8
	v_addc_co_u32_e32 v3, vcc, v9, v3, vcc
	v_mov_b32_e32 v10, s4
	global_store_dwordx2 v[2:3], v[12:13], off
	v_mov_b32_e32 v11, s5
	s_waitcnt vmcnt(0)
	global_atomic_cmpswap_x2 v[10:11], v26, v[10:13], s[6:7] offset:24 glc
	s_waitcnt vmcnt(0)
	v_cmp_ne_u64_e32 vcc, v[10:11], v[12:13]
	s_and_b64 exec, exec, vcc
	s_cbranch_execz .LBB7_521
; %bb.602:                              ;   in Loop: Header=BB7_522 Depth=1
	s_mov_b64 s[14:15], 0
.LBB7_603:                              ;   Parent Loop BB7_522 Depth=1
                                        ; =>  This Inner Loop Header: Depth=2
	s_sleep 1
	global_store_dwordx2 v[2:3], v[10:11], off
	v_mov_b32_e32 v8, s4
	v_mov_b32_e32 v9, s5
	s_waitcnt vmcnt(0)
	global_atomic_cmpswap_x2 v[8:9], v26, v[8:11], s[6:7] offset:24 glc
	s_waitcnt vmcnt(0)
	v_cmp_eq_u64_e32 vcc, v[8:9], v[10:11]
	v_mov_b32_e32 v11, v9
	s_or_b64 s[14:15], vcc, s[14:15]
	v_mov_b32_e32 v10, v8
	s_andn2_b64 exec, exec, s[14:15]
	s_cbranch_execnz .LBB7_603
	s_branch .LBB7_521
.LBB7_604:
	global_load_dwordx2 v[0:1], v[9:10], off
	s_and_saveexec_b64 s[10:11], s[4:5]
	s_cbranch_execz .LBB7_607
; %bb.605:
	v_mov_b32_e32 v8, 0
	global_load_dwordx2 v[2:3], v8, s[6:7] offset:40
	global_load_dwordx2 v[11:12], v8, s[6:7] offset:24 glc
	global_load_dwordx2 v[4:5], v8, s[6:7]
	s_waitcnt vmcnt(2)
	v_readfirstlane_b32 s12, v2
	v_readfirstlane_b32 s13, v3
	s_add_u32 s14, s12, 1
	s_addc_u32 s15, s13, 0
	s_add_u32 s4, s14, s8
	s_addc_u32 s5, s15, s9
	s_cmp_eq_u64 s[4:5], 0
	s_cselect_b32 s5, s15, s5
	s_cselect_b32 s4, s14, s4
	s_and_b64 s[8:9], s[4:5], s[12:13]
	s_mul_i32 s9, s9, 24
	s_mul_hi_u32 s12, s8, 24
	s_mul_i32 s8, s8, 24
	s_add_i32 s9, s12, s9
	v_mov_b32_e32 v2, s9
	s_waitcnt vmcnt(0)
	v_add_co_u32_e32 v6, vcc, s8, v4
	v_addc_co_u32_e32 v7, vcc, v5, v2, vcc
	v_mov_b32_e32 v9, s4
	global_store_dwordx2 v[6:7], v[11:12], off
	v_mov_b32_e32 v10, s5
	s_waitcnt vmcnt(0)
	global_atomic_cmpswap_x2 v[4:5], v8, v[9:12], s[6:7] offset:24 glc
	s_mov_b64 s[8:9], 0
	s_waitcnt vmcnt(0)
	v_cmp_ne_u64_e32 vcc, v[4:5], v[11:12]
	s_and_b64 exec, exec, vcc
	s_cbranch_execz .LBB7_607
.LBB7_606:                              ; =>This Inner Loop Header: Depth=1
	s_sleep 1
	global_store_dwordx2 v[6:7], v[4:5], off
	v_mov_b32_e32 v2, s4
	v_mov_b32_e32 v3, s5
	s_waitcnt vmcnt(0)
	global_atomic_cmpswap_x2 v[2:3], v8, v[2:5], s[6:7] offset:24 glc
	s_waitcnt vmcnt(0)
	v_cmp_eq_u64_e32 vcc, v[2:3], v[4:5]
	v_mov_b32_e32 v5, v3
	s_or_b64 s[8:9], vcc, s[8:9]
	v_mov_b32_e32 v4, v2
	s_andn2_b64 exec, exec, s[8:9]
	s_cbranch_execnz .LBB7_606
.LBB7_607:
	s_or_b64 exec, exec, s[10:11]
	s_getpc_b64 s[8:9]
	s_add_u32 s8, s8, .str.28@rel32@lo+4
	s_addc_u32 s9, s9, .str.28@rel32@hi+12
	s_cmp_lg_u64 s[8:9], 0
	s_cbranch_scc0 .LBB7_754
; %bb.608:
	s_waitcnt vmcnt(0)
	v_and_b32_e32 v6, -3, v0
	v_mov_b32_e32 v7, v1
	s_mov_b64 s[10:11], 35
	v_mov_b32_e32 v26, 0
	v_mov_b32_e32 v4, 2
	;; [unrolled: 1-line block ×3, first 2 shown]
	s_branch .LBB7_610
.LBB7_609:                              ;   in Loop: Header=BB7_610 Depth=1
	s_or_b64 exec, exec, s[16:17]
	s_sub_u32 s10, s10, s12
	s_subb_u32 s11, s11, s13
	s_add_u32 s8, s8, s12
	s_addc_u32 s9, s9, s13
	s_cmp_lg_u64 s[10:11], 0
	s_cbranch_scc0 .LBB7_694
.LBB7_610:                              ; =>This Loop Header: Depth=1
                                        ;     Child Loop BB7_613 Depth 2
                                        ;     Child Loop BB7_621 Depth 2
	;; [unrolled: 1-line block ×11, first 2 shown]
	v_cmp_lt_u64_e64 s[4:5], s[10:11], 56
	v_cmp_gt_u64_e64 s[14:15], s[10:11], 7
	s_and_b64 s[4:5], s[4:5], exec
	s_cselect_b32 s13, s11, 0
	s_cselect_b32 s12, s10, 56
	s_add_u32 s4, s8, 8
	s_addc_u32 s5, s9, 0
	s_and_b64 vcc, exec, s[14:15]
	s_cbranch_vccnz .LBB7_614
; %bb.611:                              ;   in Loop: Header=BB7_610 Depth=1
	s_cmp_eq_u64 s[10:11], 0
	s_cbranch_scc1 .LBB7_615
; %bb.612:                              ;   in Loop: Header=BB7_610 Depth=1
	s_waitcnt vmcnt(0)
	v_mov_b32_e32 v8, 0
	s_lshl_b64 s[4:5], s[12:13], 3
	s_mov_b64 s[14:15], 0
	v_mov_b32_e32 v9, 0
	s_mov_b64 s[16:17], s[8:9]
.LBB7_613:                              ;   Parent Loop BB7_610 Depth=1
                                        ; =>  This Inner Loop Header: Depth=2
	global_load_ubyte v2, v26, s[16:17]
	s_waitcnt vmcnt(0)
	v_and_b32_e32 v25, 0xffff, v2
	v_lshlrev_b64 v[2:3], s14, v[25:26]
	s_add_u32 s14, s14, 8
	s_addc_u32 s15, s15, 0
	s_add_u32 s16, s16, 1
	s_addc_u32 s17, s17, 0
	v_or_b32_e32 v8, v2, v8
	s_cmp_lg_u32 s4, s14
	v_or_b32_e32 v9, v3, v9
	s_cbranch_scc1 .LBB7_613
	s_branch .LBB7_616
.LBB7_614:                              ;   in Loop: Header=BB7_610 Depth=1
	s_mov_b32 s18, 0
	s_branch .LBB7_617
.LBB7_615:                              ;   in Loop: Header=BB7_610 Depth=1
	s_waitcnt vmcnt(0)
	v_mov_b32_e32 v8, 0
	v_mov_b32_e32 v9, 0
.LBB7_616:                              ;   in Loop: Header=BB7_610 Depth=1
	s_mov_b64 s[4:5], s[8:9]
	s_mov_b32 s18, 0
	s_cbranch_execnz .LBB7_618
.LBB7_617:                              ;   in Loop: Header=BB7_610 Depth=1
	global_load_dwordx2 v[8:9], v26, s[8:9]
	s_add_i32 s18, s12, -8
.LBB7_618:                              ;   in Loop: Header=BB7_610 Depth=1
	s_add_u32 s14, s4, 8
	s_addc_u32 s15, s5, 0
	s_cmp_gt_u32 s18, 7
	s_cbranch_scc1 .LBB7_622
; %bb.619:                              ;   in Loop: Header=BB7_610 Depth=1
	s_cmp_eq_u32 s18, 0
	s_cbranch_scc1 .LBB7_623
; %bb.620:                              ;   in Loop: Header=BB7_610 Depth=1
	v_mov_b32_e32 v10, 0
	s_mov_b64 s[14:15], 0
	v_mov_b32_e32 v11, 0
	s_mov_b64 s[16:17], 0
.LBB7_621:                              ;   Parent Loop BB7_610 Depth=1
                                        ; =>  This Inner Loop Header: Depth=2
	s_add_u32 s20, s4, s16
	s_addc_u32 s21, s5, s17
	global_load_ubyte v2, v26, s[20:21]
	s_add_u32 s16, s16, 1
	s_addc_u32 s17, s17, 0
	s_waitcnt vmcnt(0)
	v_and_b32_e32 v25, 0xffff, v2
	v_lshlrev_b64 v[2:3], s14, v[25:26]
	s_add_u32 s14, s14, 8
	s_addc_u32 s15, s15, 0
	v_or_b32_e32 v10, v2, v10
	s_cmp_lg_u32 s18, s16
	v_or_b32_e32 v11, v3, v11
	s_cbranch_scc1 .LBB7_621
	s_branch .LBB7_624
.LBB7_622:                              ;   in Loop: Header=BB7_610 Depth=1
                                        ; implicit-def: $vgpr10_vgpr11
	s_mov_b32 s19, 0
	s_branch .LBB7_625
.LBB7_623:                              ;   in Loop: Header=BB7_610 Depth=1
	v_mov_b32_e32 v10, 0
	v_mov_b32_e32 v11, 0
.LBB7_624:                              ;   in Loop: Header=BB7_610 Depth=1
	s_mov_b64 s[14:15], s[4:5]
	s_mov_b32 s19, 0
	s_cbranch_execnz .LBB7_626
.LBB7_625:                              ;   in Loop: Header=BB7_610 Depth=1
	global_load_dwordx2 v[10:11], v26, s[4:5]
	s_add_i32 s19, s18, -8
.LBB7_626:                              ;   in Loop: Header=BB7_610 Depth=1
	s_add_u32 s4, s14, 8
	s_addc_u32 s5, s15, 0
	s_cmp_gt_u32 s19, 7
	s_cbranch_scc1 .LBB7_630
; %bb.627:                              ;   in Loop: Header=BB7_610 Depth=1
	s_cmp_eq_u32 s19, 0
	s_cbranch_scc1 .LBB7_631
; %bb.628:                              ;   in Loop: Header=BB7_610 Depth=1
	v_mov_b32_e32 v12, 0
	s_mov_b64 s[4:5], 0
	v_mov_b32_e32 v13, 0
	s_mov_b64 s[16:17], 0
.LBB7_629:                              ;   Parent Loop BB7_610 Depth=1
                                        ; =>  This Inner Loop Header: Depth=2
	s_add_u32 s20, s14, s16
	s_addc_u32 s21, s15, s17
	global_load_ubyte v2, v26, s[20:21]
	s_add_u32 s16, s16, 1
	s_addc_u32 s17, s17, 0
	s_waitcnt vmcnt(0)
	v_and_b32_e32 v25, 0xffff, v2
	v_lshlrev_b64 v[2:3], s4, v[25:26]
	s_add_u32 s4, s4, 8
	s_addc_u32 s5, s5, 0
	v_or_b32_e32 v12, v2, v12
	s_cmp_lg_u32 s19, s16
	v_or_b32_e32 v13, v3, v13
	s_cbranch_scc1 .LBB7_629
	s_branch .LBB7_632
.LBB7_630:                              ;   in Loop: Header=BB7_610 Depth=1
	s_mov_b32 s18, 0
	s_branch .LBB7_633
.LBB7_631:                              ;   in Loop: Header=BB7_610 Depth=1
	v_mov_b32_e32 v12, 0
	v_mov_b32_e32 v13, 0
.LBB7_632:                              ;   in Loop: Header=BB7_610 Depth=1
	s_mov_b64 s[4:5], s[14:15]
	s_mov_b32 s18, 0
	s_cbranch_execnz .LBB7_634
.LBB7_633:                              ;   in Loop: Header=BB7_610 Depth=1
	global_load_dwordx2 v[12:13], v26, s[14:15]
	s_add_i32 s18, s19, -8
.LBB7_634:                              ;   in Loop: Header=BB7_610 Depth=1
	s_add_u32 s14, s4, 8
	s_addc_u32 s15, s5, 0
	s_cmp_gt_u32 s18, 7
	s_cbranch_scc1 .LBB7_638
; %bb.635:                              ;   in Loop: Header=BB7_610 Depth=1
	s_cmp_eq_u32 s18, 0
	s_cbranch_scc1 .LBB7_639
; %bb.636:                              ;   in Loop: Header=BB7_610 Depth=1
	v_mov_b32_e32 v14, 0
	s_mov_b64 s[14:15], 0
	v_mov_b32_e32 v15, 0
	s_mov_b64 s[16:17], 0
.LBB7_637:                              ;   Parent Loop BB7_610 Depth=1
                                        ; =>  This Inner Loop Header: Depth=2
	s_add_u32 s20, s4, s16
	s_addc_u32 s21, s5, s17
	global_load_ubyte v2, v26, s[20:21]
	s_add_u32 s16, s16, 1
	s_addc_u32 s17, s17, 0
	s_waitcnt vmcnt(0)
	v_and_b32_e32 v25, 0xffff, v2
	v_lshlrev_b64 v[2:3], s14, v[25:26]
	s_add_u32 s14, s14, 8
	s_addc_u32 s15, s15, 0
	v_or_b32_e32 v14, v2, v14
	s_cmp_lg_u32 s18, s16
	v_or_b32_e32 v15, v3, v15
	s_cbranch_scc1 .LBB7_637
	s_branch .LBB7_640
.LBB7_638:                              ;   in Loop: Header=BB7_610 Depth=1
                                        ; implicit-def: $vgpr14_vgpr15
	s_mov_b32 s19, 0
	s_branch .LBB7_641
.LBB7_639:                              ;   in Loop: Header=BB7_610 Depth=1
	v_mov_b32_e32 v14, 0
	v_mov_b32_e32 v15, 0
.LBB7_640:                              ;   in Loop: Header=BB7_610 Depth=1
	s_mov_b64 s[14:15], s[4:5]
	s_mov_b32 s19, 0
	s_cbranch_execnz .LBB7_642
.LBB7_641:                              ;   in Loop: Header=BB7_610 Depth=1
	global_load_dwordx2 v[14:15], v26, s[4:5]
	s_add_i32 s19, s18, -8
.LBB7_642:                              ;   in Loop: Header=BB7_610 Depth=1
	s_add_u32 s4, s14, 8
	s_addc_u32 s5, s15, 0
	s_cmp_gt_u32 s19, 7
	s_cbranch_scc1 .LBB7_646
; %bb.643:                              ;   in Loop: Header=BB7_610 Depth=1
	s_cmp_eq_u32 s19, 0
	s_cbranch_scc1 .LBB7_647
; %bb.644:                              ;   in Loop: Header=BB7_610 Depth=1
	v_mov_b32_e32 v16, 0
	s_mov_b64 s[4:5], 0
	v_mov_b32_e32 v17, 0
	s_mov_b64 s[16:17], 0
.LBB7_645:                              ;   Parent Loop BB7_610 Depth=1
                                        ; =>  This Inner Loop Header: Depth=2
	s_add_u32 s20, s14, s16
	s_addc_u32 s21, s15, s17
	global_load_ubyte v2, v26, s[20:21]
	s_add_u32 s16, s16, 1
	s_addc_u32 s17, s17, 0
	s_waitcnt vmcnt(0)
	v_and_b32_e32 v25, 0xffff, v2
	v_lshlrev_b64 v[2:3], s4, v[25:26]
	s_add_u32 s4, s4, 8
	s_addc_u32 s5, s5, 0
	v_or_b32_e32 v16, v2, v16
	s_cmp_lg_u32 s19, s16
	v_or_b32_e32 v17, v3, v17
	s_cbranch_scc1 .LBB7_645
	s_branch .LBB7_648
.LBB7_646:                              ;   in Loop: Header=BB7_610 Depth=1
	s_mov_b32 s18, 0
	s_branch .LBB7_649
.LBB7_647:                              ;   in Loop: Header=BB7_610 Depth=1
	v_mov_b32_e32 v16, 0
	v_mov_b32_e32 v17, 0
.LBB7_648:                              ;   in Loop: Header=BB7_610 Depth=1
	s_mov_b64 s[4:5], s[14:15]
	s_mov_b32 s18, 0
	s_cbranch_execnz .LBB7_650
.LBB7_649:                              ;   in Loop: Header=BB7_610 Depth=1
	global_load_dwordx2 v[16:17], v26, s[14:15]
	s_add_i32 s18, s19, -8
.LBB7_650:                              ;   in Loop: Header=BB7_610 Depth=1
	s_add_u32 s14, s4, 8
	s_addc_u32 s15, s5, 0
	s_cmp_gt_u32 s18, 7
	s_cbranch_scc1 .LBB7_654
; %bb.651:                              ;   in Loop: Header=BB7_610 Depth=1
	s_cmp_eq_u32 s18, 0
	s_cbranch_scc1 .LBB7_655
; %bb.652:                              ;   in Loop: Header=BB7_610 Depth=1
	v_mov_b32_e32 v18, 0
	s_mov_b64 s[14:15], 0
	v_mov_b32_e32 v19, 0
	s_mov_b64 s[16:17], 0
.LBB7_653:                              ;   Parent Loop BB7_610 Depth=1
                                        ; =>  This Inner Loop Header: Depth=2
	s_add_u32 s20, s4, s16
	s_addc_u32 s21, s5, s17
	global_load_ubyte v2, v26, s[20:21]
	s_add_u32 s16, s16, 1
	s_addc_u32 s17, s17, 0
	s_waitcnt vmcnt(0)
	v_and_b32_e32 v25, 0xffff, v2
	v_lshlrev_b64 v[2:3], s14, v[25:26]
	s_add_u32 s14, s14, 8
	s_addc_u32 s15, s15, 0
	v_or_b32_e32 v18, v2, v18
	s_cmp_lg_u32 s18, s16
	v_or_b32_e32 v19, v3, v19
	s_cbranch_scc1 .LBB7_653
	s_branch .LBB7_656
.LBB7_654:                              ;   in Loop: Header=BB7_610 Depth=1
                                        ; implicit-def: $vgpr18_vgpr19
	s_mov_b32 s19, 0
	s_branch .LBB7_657
.LBB7_655:                              ;   in Loop: Header=BB7_610 Depth=1
	v_mov_b32_e32 v18, 0
	v_mov_b32_e32 v19, 0
.LBB7_656:                              ;   in Loop: Header=BB7_610 Depth=1
	s_mov_b64 s[14:15], s[4:5]
	s_mov_b32 s19, 0
	s_cbranch_execnz .LBB7_658
.LBB7_657:                              ;   in Loop: Header=BB7_610 Depth=1
	global_load_dwordx2 v[18:19], v26, s[4:5]
	s_add_i32 s19, s18, -8
.LBB7_658:                              ;   in Loop: Header=BB7_610 Depth=1
	s_cmp_gt_u32 s19, 7
	s_cbranch_scc1 .LBB7_662
; %bb.659:                              ;   in Loop: Header=BB7_610 Depth=1
	s_cmp_eq_u32 s19, 0
	s_cbranch_scc1 .LBB7_663
; %bb.660:                              ;   in Loop: Header=BB7_610 Depth=1
	v_mov_b32_e32 v20, 0
	s_mov_b64 s[4:5], 0
	v_mov_b32_e32 v21, 0
	s_mov_b64 s[16:17], s[14:15]
.LBB7_661:                              ;   Parent Loop BB7_610 Depth=1
                                        ; =>  This Inner Loop Header: Depth=2
	global_load_ubyte v2, v26, s[16:17]
	s_add_i32 s19, s19, -1
	s_waitcnt vmcnt(0)
	v_and_b32_e32 v25, 0xffff, v2
	v_lshlrev_b64 v[2:3], s4, v[25:26]
	s_add_u32 s4, s4, 8
	s_addc_u32 s5, s5, 0
	s_add_u32 s16, s16, 1
	s_addc_u32 s17, s17, 0
	v_or_b32_e32 v20, v2, v20
	s_cmp_lg_u32 s19, 0
	v_or_b32_e32 v21, v3, v21
	s_cbranch_scc1 .LBB7_661
	s_branch .LBB7_664
.LBB7_662:                              ;   in Loop: Header=BB7_610 Depth=1
	s_branch .LBB7_665
.LBB7_663:                              ;   in Loop: Header=BB7_610 Depth=1
	v_mov_b32_e32 v20, 0
	v_mov_b32_e32 v21, 0
.LBB7_664:                              ;   in Loop: Header=BB7_610 Depth=1
	s_cbranch_execnz .LBB7_666
.LBB7_665:                              ;   in Loop: Header=BB7_610 Depth=1
	global_load_dwordx2 v[20:21], v26, s[14:15]
.LBB7_666:                              ;   in Loop: Header=BB7_610 Depth=1
	v_readfirstlane_b32 s4, v30
	v_mov_b32_e32 v2, 0
	v_mov_b32_e32 v3, 0
	v_cmp_eq_u32_e64 s[4:5], s4, v30
	s_and_saveexec_b64 s[14:15], s[4:5]
	s_cbranch_execz .LBB7_672
; %bb.667:                              ;   in Loop: Header=BB7_610 Depth=1
	global_load_dwordx2 v[24:25], v26, s[6:7] offset:24 glc
	s_waitcnt vmcnt(0)
	buffer_wbinvl1_vol
	global_load_dwordx2 v[2:3], v26, s[6:7] offset:40
	global_load_dwordx2 v[22:23], v26, s[6:7]
	s_waitcnt vmcnt(1)
	v_and_b32_e32 v2, v2, v24
	v_and_b32_e32 v3, v3, v25
	v_mul_lo_u32 v3, v3, 24
	v_mul_hi_u32 v27, v2, 24
	v_mul_lo_u32 v2, v2, 24
	v_add_u32_e32 v3, v27, v3
	s_waitcnt vmcnt(0)
	v_add_co_u32_e32 v2, vcc, v22, v2
	v_addc_co_u32_e32 v3, vcc, v23, v3, vcc
	global_load_dwordx2 v[22:23], v[2:3], off glc
	s_waitcnt vmcnt(0)
	global_atomic_cmpswap_x2 v[2:3], v26, v[22:25], s[6:7] offset:24 glc
	s_waitcnt vmcnt(0)
	buffer_wbinvl1_vol
	v_cmp_ne_u64_e32 vcc, v[2:3], v[24:25]
	s_and_saveexec_b64 s[16:17], vcc
	s_cbranch_execz .LBB7_671
; %bb.668:                              ;   in Loop: Header=BB7_610 Depth=1
	s_mov_b64 s[18:19], 0
.LBB7_669:                              ;   Parent Loop BB7_610 Depth=1
                                        ; =>  This Inner Loop Header: Depth=2
	s_sleep 1
	global_load_dwordx2 v[22:23], v26, s[6:7] offset:40
	global_load_dwordx2 v[27:28], v26, s[6:7]
	v_mov_b32_e32 v25, v3
	v_mov_b32_e32 v24, v2
	s_waitcnt vmcnt(1)
	v_and_b32_e32 v2, v22, v24
	s_waitcnt vmcnt(0)
	v_mad_u64_u32 v[2:3], s[20:21], v2, 24, v[27:28]
	v_and_b32_e32 v22, v23, v25
	v_mad_u64_u32 v[22:23], s[20:21], v22, 24, v[3:4]
	v_mov_b32_e32 v3, v22
	global_load_dwordx2 v[22:23], v[2:3], off glc
	s_waitcnt vmcnt(0)
	global_atomic_cmpswap_x2 v[2:3], v26, v[22:25], s[6:7] offset:24 glc
	s_waitcnt vmcnt(0)
	buffer_wbinvl1_vol
	v_cmp_eq_u64_e32 vcc, v[2:3], v[24:25]
	s_or_b64 s[18:19], vcc, s[18:19]
	s_andn2_b64 exec, exec, s[18:19]
	s_cbranch_execnz .LBB7_669
; %bb.670:                              ;   in Loop: Header=BB7_610 Depth=1
	s_or_b64 exec, exec, s[18:19]
.LBB7_671:                              ;   in Loop: Header=BB7_610 Depth=1
	s_or_b64 exec, exec, s[16:17]
.LBB7_672:                              ;   in Loop: Header=BB7_610 Depth=1
	s_or_b64 exec, exec, s[14:15]
	global_load_dwordx2 v[27:28], v26, s[6:7] offset:40
	global_load_dwordx4 v[22:25], v26, s[6:7]
	v_readfirstlane_b32 s15, v3
	v_readfirstlane_b32 s14, v2
	s_mov_b64 s[16:17], exec
	s_waitcnt vmcnt(1)
	v_readfirstlane_b32 s18, v27
	v_readfirstlane_b32 s19, v28
	s_and_b64 s[18:19], s[18:19], s[14:15]
	s_mul_i32 s20, s19, 24
	s_mul_hi_u32 s21, s18, 24
	s_mul_i32 s22, s18, 24
	s_add_i32 s20, s21, s20
	v_mov_b32_e32 v2, s20
	s_waitcnt vmcnt(0)
	v_add_co_u32_e32 v27, vcc, s22, v22
	v_addc_co_u32_e32 v28, vcc, v23, v2, vcc
	s_and_saveexec_b64 s[20:21], s[4:5]
	s_cbranch_execz .LBB7_674
; %bb.673:                              ;   in Loop: Header=BB7_610 Depth=1
	v_mov_b32_e32 v2, s16
	v_mov_b32_e32 v3, s17
	global_store_dwordx4 v[27:28], v[2:5], off offset:8
.LBB7_674:                              ;   in Loop: Header=BB7_610 Depth=1
	s_or_b64 exec, exec, s[20:21]
	s_lshl_b64 s[16:17], s[18:19], 12
	v_cmp_gt_u64_e64 s[18:19], s[10:11], 56
	v_mov_b32_e32 v2, s17
	v_add_co_u32_e32 v24, vcc, s16, v24
	s_and_b64 s[16:17], s[18:19], exec
	s_cselect_b32 s16, 0, 2
	s_lshl_b32 s17, s12, 2
	v_addc_co_u32_e32 v31, vcc, v25, v2, vcc
	s_add_i32 s17, s17, 28
	v_and_b32_e32 v2, 0xffffff1f, v6
	s_and_b32 s17, s17, 0x1e0
	v_or_b32_e32 v2, s16, v2
	v_or_b32_e32 v6, s17, v2
	v_readfirstlane_b32 s16, v24
	v_readfirstlane_b32 s17, v31
	s_nop 4
	global_store_dwordx4 v29, v[6:9], s[16:17]
	global_store_dwordx4 v29, v[10:13], s[16:17] offset:16
	global_store_dwordx4 v29, v[14:17], s[16:17] offset:32
	;; [unrolled: 1-line block ×3, first 2 shown]
	s_and_saveexec_b64 s[16:17], s[4:5]
	s_cbranch_execz .LBB7_682
; %bb.675:                              ;   in Loop: Header=BB7_610 Depth=1
	global_load_dwordx2 v[10:11], v26, s[6:7] offset:32 glc
	global_load_dwordx2 v[2:3], v26, s[6:7] offset:40
	v_mov_b32_e32 v8, s14
	v_mov_b32_e32 v9, s15
	s_waitcnt vmcnt(0)
	v_readfirstlane_b32 s18, v2
	v_readfirstlane_b32 s19, v3
	s_and_b64 s[18:19], s[18:19], s[14:15]
	s_mul_i32 s19, s19, 24
	s_mul_hi_u32 s20, s18, 24
	s_mul_i32 s18, s18, 24
	s_add_i32 s19, s20, s19
	v_mov_b32_e32 v3, s19
	v_add_co_u32_e32 v2, vcc, s18, v22
	v_addc_co_u32_e32 v3, vcc, v23, v3, vcc
	global_store_dwordx2 v[2:3], v[10:11], off
	s_waitcnt vmcnt(0)
	global_atomic_cmpswap_x2 v[8:9], v26, v[8:11], s[6:7] offset:32 glc
	s_waitcnt vmcnt(0)
	v_cmp_ne_u64_e32 vcc, v[8:9], v[10:11]
	s_and_saveexec_b64 s[18:19], vcc
	s_cbranch_execz .LBB7_678
; %bb.676:                              ;   in Loop: Header=BB7_610 Depth=1
	s_mov_b64 s[20:21], 0
.LBB7_677:                              ;   Parent Loop BB7_610 Depth=1
                                        ; =>  This Inner Loop Header: Depth=2
	s_sleep 1
	global_store_dwordx2 v[2:3], v[8:9], off
	v_mov_b32_e32 v6, s14
	v_mov_b32_e32 v7, s15
	s_waitcnt vmcnt(0)
	global_atomic_cmpswap_x2 v[6:7], v26, v[6:9], s[6:7] offset:32 glc
	s_waitcnt vmcnt(0)
	v_cmp_eq_u64_e32 vcc, v[6:7], v[8:9]
	v_mov_b32_e32 v9, v7
	s_or_b64 s[20:21], vcc, s[20:21]
	v_mov_b32_e32 v8, v6
	s_andn2_b64 exec, exec, s[20:21]
	s_cbranch_execnz .LBB7_677
.LBB7_678:                              ;   in Loop: Header=BB7_610 Depth=1
	s_or_b64 exec, exec, s[18:19]
	global_load_dwordx2 v[2:3], v26, s[6:7] offset:16
	s_mov_b64 s[20:21], exec
	v_mbcnt_lo_u32_b32 v6, s20, 0
	v_mbcnt_hi_u32_b32 v6, s21, v6
	v_cmp_eq_u32_e32 vcc, 0, v6
	s_and_saveexec_b64 s[18:19], vcc
	s_cbranch_execz .LBB7_680
; %bb.679:                              ;   in Loop: Header=BB7_610 Depth=1
	s_bcnt1_i32_b64 s20, s[20:21]
	v_mov_b32_e32 v25, s20
	s_waitcnt vmcnt(0)
	global_atomic_add_x2 v[2:3], v[25:26], off offset:8
.LBB7_680:                              ;   in Loop: Header=BB7_610 Depth=1
	s_or_b64 exec, exec, s[18:19]
	s_waitcnt vmcnt(0)
	global_load_dwordx2 v[6:7], v[2:3], off offset:16
	s_waitcnt vmcnt(0)
	v_cmp_eq_u64_e32 vcc, 0, v[6:7]
	s_cbranch_vccnz .LBB7_682
; %bb.681:                              ;   in Loop: Header=BB7_610 Depth=1
	global_load_dword v25, v[2:3], off offset:24
	s_waitcnt vmcnt(0)
	v_readfirstlane_b32 s18, v25
	s_and_b32 m0, s18, 0xffffff
	global_store_dwordx2 v[6:7], v[25:26], off
	s_sendmsg sendmsg(MSG_INTERRUPT)
.LBB7_682:                              ;   in Loop: Header=BB7_610 Depth=1
	s_or_b64 exec, exec, s[16:17]
	v_add_co_u32_e32 v2, vcc, v24, v29
	v_addc_co_u32_e32 v3, vcc, 0, v31, vcc
	s_branch .LBB7_686
.LBB7_683:                              ;   in Loop: Header=BB7_686 Depth=2
	s_or_b64 exec, exec, s[16:17]
	v_readfirstlane_b32 s16, v6
	s_cmp_eq_u32 s16, 0
	s_cbranch_scc1 .LBB7_685
; %bb.684:                              ;   in Loop: Header=BB7_686 Depth=2
	s_sleep 1
	s_cbranch_execnz .LBB7_686
	s_branch .LBB7_688
.LBB7_685:                              ;   in Loop: Header=BB7_610 Depth=1
	s_branch .LBB7_688
.LBB7_686:                              ;   Parent Loop BB7_610 Depth=1
                                        ; =>  This Inner Loop Header: Depth=2
	v_mov_b32_e32 v6, 1
	s_and_saveexec_b64 s[16:17], s[4:5]
	s_cbranch_execz .LBB7_683
; %bb.687:                              ;   in Loop: Header=BB7_686 Depth=2
	global_load_dword v6, v[27:28], off offset:20 glc
	s_waitcnt vmcnt(0)
	buffer_wbinvl1_vol
	v_and_b32_e32 v6, 1, v6
	s_branch .LBB7_683
.LBB7_688:                              ;   in Loop: Header=BB7_610 Depth=1
	global_load_dwordx4 v[6:9], v[2:3], off
	s_and_saveexec_b64 s[16:17], s[4:5]
	s_cbranch_execz .LBB7_609
; %bb.689:                              ;   in Loop: Header=BB7_610 Depth=1
	global_load_dwordx2 v[2:3], v26, s[6:7] offset:40
	global_load_dwordx2 v[12:13], v26, s[6:7] offset:24 glc
	global_load_dwordx2 v[8:9], v26, s[6:7]
	s_waitcnt vmcnt(2)
	v_readfirstlane_b32 s18, v2
	v_readfirstlane_b32 s19, v3
	s_add_u32 s20, s18, 1
	s_addc_u32 s21, s19, 0
	s_add_u32 s4, s20, s14
	s_addc_u32 s5, s21, s15
	s_cmp_eq_u64 s[4:5], 0
	s_cselect_b32 s5, s21, s5
	s_cselect_b32 s4, s20, s4
	s_and_b64 s[14:15], s[4:5], s[18:19]
	s_mul_i32 s15, s15, 24
	s_mul_hi_u32 s18, s14, 24
	s_mul_i32 s14, s14, 24
	s_add_i32 s15, s18, s15
	v_mov_b32_e32 v3, s15
	s_waitcnt vmcnt(0)
	v_add_co_u32_e32 v2, vcc, s14, v8
	v_addc_co_u32_e32 v3, vcc, v9, v3, vcc
	v_mov_b32_e32 v10, s4
	global_store_dwordx2 v[2:3], v[12:13], off
	v_mov_b32_e32 v11, s5
	s_waitcnt vmcnt(0)
	global_atomic_cmpswap_x2 v[10:11], v26, v[10:13], s[6:7] offset:24 glc
	s_waitcnt vmcnt(0)
	v_cmp_ne_u64_e32 vcc, v[10:11], v[12:13]
	s_and_b64 exec, exec, vcc
	s_cbranch_execz .LBB7_609
; %bb.690:                              ;   in Loop: Header=BB7_610 Depth=1
	s_mov_b64 s[14:15], 0
.LBB7_691:                              ;   Parent Loop BB7_610 Depth=1
                                        ; =>  This Inner Loop Header: Depth=2
	s_sleep 1
	global_store_dwordx2 v[2:3], v[10:11], off
	v_mov_b32_e32 v8, s4
	v_mov_b32_e32 v9, s5
	s_waitcnt vmcnt(0)
	global_atomic_cmpswap_x2 v[8:9], v26, v[8:11], s[6:7] offset:24 glc
	s_waitcnt vmcnt(0)
	v_cmp_eq_u64_e32 vcc, v[8:9], v[10:11]
	v_mov_b32_e32 v11, v9
	s_or_b64 s[14:15], vcc, s[14:15]
	v_mov_b32_e32 v10, v8
	s_andn2_b64 exec, exec, s[14:15]
	s_cbranch_execnz .LBB7_691
	s_branch .LBB7_609
.LBB7_692:
	s_branch .LBB7_722
.LBB7_693:
	s_branch .LBB7_752
.LBB7_694:
	s_branch .LBB7_781
.LBB7_695:
	s_cbranch_execz .LBB7_722
; %bb.696:
	v_readfirstlane_b32 s4, v30
	s_waitcnt vmcnt(0)
	v_mov_b32_e32 v8, 0
	v_mov_b32_e32 v9, 0
	v_cmp_eq_u32_e64 s[4:5], s4, v30
	s_and_saveexec_b64 s[8:9], s[4:5]
	s_cbranch_execz .LBB7_702
; %bb.697:
	v_mov_b32_e32 v2, 0
	global_load_dwordx2 v[5:6], v2, s[6:7] offset:24 glc
	s_waitcnt vmcnt(0)
	buffer_wbinvl1_vol
	global_load_dwordx2 v[3:4], v2, s[6:7] offset:40
	global_load_dwordx2 v[7:8], v2, s[6:7]
	s_waitcnt vmcnt(1)
	v_and_b32_e32 v3, v3, v5
	v_and_b32_e32 v4, v4, v6
	v_mul_lo_u32 v4, v4, 24
	v_mul_hi_u32 v9, v3, 24
	v_mul_lo_u32 v3, v3, 24
	v_add_u32_e32 v4, v9, v4
	s_waitcnt vmcnt(0)
	v_add_co_u32_e32 v3, vcc, v7, v3
	v_addc_co_u32_e32 v4, vcc, v8, v4, vcc
	global_load_dwordx2 v[3:4], v[3:4], off glc
	s_waitcnt vmcnt(0)
	global_atomic_cmpswap_x2 v[8:9], v2, v[3:6], s[6:7] offset:24 glc
	s_waitcnt vmcnt(0)
	buffer_wbinvl1_vol
	v_cmp_ne_u64_e32 vcc, v[8:9], v[5:6]
	s_and_saveexec_b64 s[10:11], vcc
	s_cbranch_execz .LBB7_701
; %bb.698:
	s_mov_b64 s[12:13], 0
.LBB7_699:                              ; =>This Inner Loop Header: Depth=1
	s_sleep 1
	global_load_dwordx2 v[3:4], v2, s[6:7] offset:40
	global_load_dwordx2 v[10:11], v2, s[6:7]
	v_mov_b32_e32 v5, v8
	v_mov_b32_e32 v6, v9
	s_waitcnt vmcnt(1)
	v_and_b32_e32 v3, v3, v5
	s_waitcnt vmcnt(0)
	v_mad_u64_u32 v[7:8], s[14:15], v3, 24, v[10:11]
	v_and_b32_e32 v4, v4, v6
	v_mov_b32_e32 v3, v8
	v_mad_u64_u32 v[3:4], s[14:15], v4, 24, v[3:4]
	v_mov_b32_e32 v8, v3
	global_load_dwordx2 v[3:4], v[7:8], off glc
	s_waitcnt vmcnt(0)
	global_atomic_cmpswap_x2 v[8:9], v2, v[3:6], s[6:7] offset:24 glc
	s_waitcnt vmcnt(0)
	buffer_wbinvl1_vol
	v_cmp_eq_u64_e32 vcc, v[8:9], v[5:6]
	s_or_b64 s[12:13], vcc, s[12:13]
	s_andn2_b64 exec, exec, s[12:13]
	s_cbranch_execnz .LBB7_699
; %bb.700:
	s_or_b64 exec, exec, s[12:13]
.LBB7_701:
	s_or_b64 exec, exec, s[10:11]
.LBB7_702:
	s_or_b64 exec, exec, s[8:9]
	v_mov_b32_e32 v2, 0
	global_load_dwordx2 v[10:11], v2, s[6:7] offset:40
	global_load_dwordx4 v[4:7], v2, s[6:7]
	v_readfirstlane_b32 s9, v9
	v_readfirstlane_b32 s8, v8
	s_mov_b64 s[10:11], exec
	s_waitcnt vmcnt(1)
	v_readfirstlane_b32 s12, v10
	v_readfirstlane_b32 s13, v11
	s_and_b64 s[12:13], s[12:13], s[8:9]
	s_mul_i32 s14, s13, 24
	s_mul_hi_u32 s15, s12, 24
	s_mul_i32 s16, s12, 24
	s_add_i32 s14, s15, s14
	v_mov_b32_e32 v3, s14
	s_waitcnt vmcnt(0)
	v_add_co_u32_e32 v8, vcc, s16, v4
	v_addc_co_u32_e32 v9, vcc, v5, v3, vcc
	s_and_saveexec_b64 s[14:15], s[4:5]
	s_cbranch_execz .LBB7_704
; %bb.703:
	v_mov_b32_e32 v10, s10
	v_mov_b32_e32 v11, s11
	;; [unrolled: 1-line block ×4, first 2 shown]
	global_store_dwordx4 v[8:9], v[10:13], off offset:8
.LBB7_704:
	s_or_b64 exec, exec, s[14:15]
	s_lshl_b64 s[10:11], s[12:13], 12
	v_mov_b32_e32 v3, s11
	v_add_co_u32_e32 v6, vcc, s10, v6
	v_addc_co_u32_e32 v7, vcc, v7, v3, vcc
	s_movk_i32 s10, 0xff1d
	v_and_or_b32 v0, v0, s10, 34
	s_mov_b32 s12, 0
	v_mov_b32_e32 v3, v2
	v_readfirstlane_b32 s10, v6
	v_readfirstlane_b32 s11, v7
	s_mov_b32 s13, s12
	s_mov_b32 s14, s12
	;; [unrolled: 1-line block ×3, first 2 shown]
	s_nop 1
	global_store_dwordx4 v29, v[0:3], s[10:11]
	s_nop 0
	v_mov_b32_e32 v0, s12
	v_mov_b32_e32 v1, s13
	;; [unrolled: 1-line block ×4, first 2 shown]
	global_store_dwordx4 v29, v[0:3], s[10:11] offset:16
	global_store_dwordx4 v29, v[0:3], s[10:11] offset:32
	global_store_dwordx4 v29, v[0:3], s[10:11] offset:48
	s_and_saveexec_b64 s[10:11], s[4:5]
	s_cbranch_execz .LBB7_712
; %bb.705:
	v_mov_b32_e32 v6, 0
	global_load_dwordx2 v[12:13], v6, s[6:7] offset:32 glc
	global_load_dwordx2 v[0:1], v6, s[6:7] offset:40
	v_mov_b32_e32 v10, s8
	v_mov_b32_e32 v11, s9
	s_waitcnt vmcnt(0)
	v_readfirstlane_b32 s12, v0
	v_readfirstlane_b32 s13, v1
	s_and_b64 s[12:13], s[12:13], s[8:9]
	s_mul_i32 s13, s13, 24
	s_mul_hi_u32 s14, s12, 24
	s_mul_i32 s12, s12, 24
	s_add_i32 s13, s14, s13
	v_mov_b32_e32 v0, s13
	v_add_co_u32_e32 v4, vcc, s12, v4
	v_addc_co_u32_e32 v5, vcc, v5, v0, vcc
	global_store_dwordx2 v[4:5], v[12:13], off
	s_waitcnt vmcnt(0)
	global_atomic_cmpswap_x2 v[2:3], v6, v[10:13], s[6:7] offset:32 glc
	s_waitcnt vmcnt(0)
	v_cmp_ne_u64_e32 vcc, v[2:3], v[12:13]
	s_and_saveexec_b64 s[12:13], vcc
	s_cbranch_execz .LBB7_708
; %bb.706:
	s_mov_b64 s[14:15], 0
.LBB7_707:                              ; =>This Inner Loop Header: Depth=1
	s_sleep 1
	global_store_dwordx2 v[4:5], v[2:3], off
	v_mov_b32_e32 v0, s8
	v_mov_b32_e32 v1, s9
	s_waitcnt vmcnt(0)
	global_atomic_cmpswap_x2 v[0:1], v6, v[0:3], s[6:7] offset:32 glc
	s_waitcnt vmcnt(0)
	v_cmp_eq_u64_e32 vcc, v[0:1], v[2:3]
	v_mov_b32_e32 v3, v1
	s_or_b64 s[14:15], vcc, s[14:15]
	v_mov_b32_e32 v2, v0
	s_andn2_b64 exec, exec, s[14:15]
	s_cbranch_execnz .LBB7_707
.LBB7_708:
	s_or_b64 exec, exec, s[12:13]
	v_mov_b32_e32 v3, 0
	global_load_dwordx2 v[0:1], v3, s[6:7] offset:16
	s_mov_b64 s[12:13], exec
	v_mbcnt_lo_u32_b32 v2, s12, 0
	v_mbcnt_hi_u32_b32 v2, s13, v2
	v_cmp_eq_u32_e32 vcc, 0, v2
	s_and_saveexec_b64 s[14:15], vcc
	s_cbranch_execz .LBB7_710
; %bb.709:
	s_bcnt1_i32_b64 s12, s[12:13]
	v_mov_b32_e32 v2, s12
	s_waitcnt vmcnt(0)
	global_atomic_add_x2 v[0:1], v[2:3], off offset:8
.LBB7_710:
	s_or_b64 exec, exec, s[14:15]
	s_waitcnt vmcnt(0)
	global_load_dwordx2 v[2:3], v[0:1], off offset:16
	s_waitcnt vmcnt(0)
	v_cmp_eq_u64_e32 vcc, 0, v[2:3]
	s_cbranch_vccnz .LBB7_712
; %bb.711:
	global_load_dword v0, v[0:1], off offset:24
	v_mov_b32_e32 v1, 0
	s_waitcnt vmcnt(0)
	v_readfirstlane_b32 s12, v0
	s_and_b32 m0, s12, 0xffffff
	global_store_dwordx2 v[2:3], v[0:1], off
	s_sendmsg sendmsg(MSG_INTERRUPT)
.LBB7_712:
	s_or_b64 exec, exec, s[10:11]
	s_branch .LBB7_716
.LBB7_713:                              ;   in Loop: Header=BB7_716 Depth=1
	s_or_b64 exec, exec, s[10:11]
	v_readfirstlane_b32 s10, v0
	s_cmp_eq_u32 s10, 0
	s_cbranch_scc1 .LBB7_715
; %bb.714:                              ;   in Loop: Header=BB7_716 Depth=1
	s_sleep 1
	s_cbranch_execnz .LBB7_716
	s_branch .LBB7_718
.LBB7_715:
	s_branch .LBB7_718
.LBB7_716:                              ; =>This Inner Loop Header: Depth=1
	v_mov_b32_e32 v0, 1
	s_and_saveexec_b64 s[10:11], s[4:5]
	s_cbranch_execz .LBB7_713
; %bb.717:                              ;   in Loop: Header=BB7_716 Depth=1
	global_load_dword v0, v[8:9], off offset:20 glc
	s_waitcnt vmcnt(0)
	buffer_wbinvl1_vol
	v_and_b32_e32 v0, 1, v0
	s_branch .LBB7_713
.LBB7_718:
	s_and_saveexec_b64 s[10:11], s[4:5]
	s_cbranch_execz .LBB7_721
; %bb.719:
	v_mov_b32_e32 v6, 0
	global_load_dwordx2 v[0:1], v6, s[6:7] offset:40
	global_load_dwordx2 v[9:10], v6, s[6:7] offset:24 glc
	global_load_dwordx2 v[2:3], v6, s[6:7]
	s_waitcnt vmcnt(2)
	v_readfirstlane_b32 s12, v0
	v_readfirstlane_b32 s13, v1
	s_add_u32 s14, s12, 1
	s_addc_u32 s15, s13, 0
	s_add_u32 s4, s14, s8
	s_addc_u32 s5, s15, s9
	s_cmp_eq_u64 s[4:5], 0
	s_cselect_b32 s5, s15, s5
	s_cselect_b32 s4, s14, s4
	s_and_b64 s[8:9], s[4:5], s[12:13]
	s_mul_i32 s9, s9, 24
	s_mul_hi_u32 s12, s8, 24
	s_mul_i32 s8, s8, 24
	s_add_i32 s9, s12, s9
	v_mov_b32_e32 v0, s9
	s_waitcnt vmcnt(0)
	v_add_co_u32_e32 v4, vcc, s8, v2
	v_addc_co_u32_e32 v5, vcc, v3, v0, vcc
	v_mov_b32_e32 v7, s4
	global_store_dwordx2 v[4:5], v[9:10], off
	v_mov_b32_e32 v8, s5
	s_waitcnt vmcnt(0)
	global_atomic_cmpswap_x2 v[2:3], v6, v[7:10], s[6:7] offset:24 glc
	s_mov_b64 s[8:9], 0
	s_waitcnt vmcnt(0)
	v_cmp_ne_u64_e32 vcc, v[2:3], v[9:10]
	s_and_b64 exec, exec, vcc
	s_cbranch_execz .LBB7_721
.LBB7_720:                              ; =>This Inner Loop Header: Depth=1
	s_sleep 1
	global_store_dwordx2 v[4:5], v[2:3], off
	v_mov_b32_e32 v0, s4
	v_mov_b32_e32 v1, s5
	s_waitcnt vmcnt(0)
	global_atomic_cmpswap_x2 v[0:1], v6, v[0:3], s[6:7] offset:24 glc
	s_waitcnt vmcnt(0)
	v_cmp_eq_u64_e32 vcc, v[0:1], v[2:3]
	v_mov_b32_e32 v3, v1
	s_or_b64 s[8:9], vcc, s[8:9]
	v_mov_b32_e32 v2, v0
	s_andn2_b64 exec, exec, s[8:9]
	s_cbranch_execnz .LBB7_720
.LBB7_721:
	s_or_b64 exec, exec, s[10:11]
.LBB7_722:
	s_add_u32 s8, s88, 0x80
	s_addc_u32 s9, s89, 0
	s_getpc_b64 s[4:5]
	s_add_u32 s4, s4, .str.29@rel32@lo+4
	s_addc_u32 s5, s5, .str.29@rel32@hi+12
	s_getpc_b64 s[6:7]
	s_add_u32 s6, s6, .str.19@rel32@lo+4
	s_addc_u32 s7, s7, .str.19@rel32@hi+12
	s_getpc_b64 s[10:11]
	s_add_u32 s10, s10, __PRETTY_FUNCTION__._ZN7VecsMemIjLi8192EE5fetchEi@rel32@lo+4
	s_addc_u32 s11, s11, __PRETTY_FUNCTION__._ZN7VecsMemIjLi8192EE5fetchEi@rel32@hi+12
	s_getpc_b64 s[12:13]
	s_add_u32 s12, s12, __assert_fail@rel32@lo+4
	s_addc_u32 s13, s13, __assert_fail@rel32@hi+12
	s_waitcnt vmcnt(0)
	v_mov_b32_e32 v0, s4
	v_mov_b32_e32 v1, s5
	;; [unrolled: 1-line block ×7, first 2 shown]
	s_swappc_b64 s[30:31], s[12:13]
	s_or_b64 s[26:27], s[26:27], exec
	s_or_b64 exec, exec, s[66:67]
	s_and_saveexec_b64 s[4:5], s[64:65]
	s_xor_b64 s[64:65], exec, s[4:5]
	s_cbranch_execz .LBB7_330
.LBB7_723:
	s_add_u32 s8, s88, 0x80
	s_addc_u32 s9, s89, 0
	s_getpc_b64 s[4:5]
	s_add_u32 s4, s4, .str.18@rel32@lo+4
	s_addc_u32 s5, s5, .str.18@rel32@hi+12
	s_getpc_b64 s[6:7]
	s_add_u32 s6, s6, .str.19@rel32@lo+4
	s_addc_u32 s7, s7, .str.19@rel32@hi+12
	s_getpc_b64 s[10:11]
	s_add_u32 s10, s10, __PRETTY_FUNCTION__._ZN7VecsMemIjLi8192EE6shrinkEi@rel32@lo+4
	s_addc_u32 s11, s11, __PRETTY_FUNCTION__._ZN7VecsMemIjLi8192EE6shrinkEi@rel32@hi+12
	s_getpc_b64 s[12:13]
	s_add_u32 s12, s12, __assert_fail@rel32@lo+4
	s_addc_u32 s13, s13, __assert_fail@rel32@hi+12
	v_mov_b32_e32 v0, s4
	v_mov_b32_e32 v1, s5
	s_waitcnt vmcnt(0)
	v_mov_b32_e32 v2, s6
	v_mov_b32_e32 v3, s7
	;; [unrolled: 1-line block ×5, first 2 shown]
	s_swappc_b64 s[30:31], s[12:13]
	s_or_b64 s[26:27], s[26:27], exec
	s_or_b64 exec, exec, s[64:65]
	s_and_saveexec_b64 s[4:5], s[62:63]
	s_xor_b64 s[62:63], exec, s[4:5]
	s_cbranch_execz .LBB7_331
.LBB7_724:
	s_add_u32 s8, s88, 0x80
	s_addc_u32 s9, s89, 0
	s_getpc_b64 s[4:5]
	s_add_u32 s4, s4, .str.18@rel32@lo+4
	s_addc_u32 s5, s5, .str.18@rel32@hi+12
	s_getpc_b64 s[6:7]
	s_add_u32 s6, s6, .str.19@rel32@lo+4
	s_addc_u32 s7, s7, .str.19@rel32@hi+12
	s_getpc_b64 s[10:11]
	s_add_u32 s10, s10, __PRETTY_FUNCTION__._ZN7VecsMemIjLi8192EE6shrinkEi@rel32@lo+4
	s_addc_u32 s11, s11, __PRETTY_FUNCTION__._ZN7VecsMemIjLi8192EE6shrinkEi@rel32@hi+12
	s_getpc_b64 s[12:13]
	s_add_u32 s12, s12, __assert_fail@rel32@lo+4
	s_addc_u32 s13, s13, __assert_fail@rel32@hi+12
	v_mov_b32_e32 v0, s4
	v_mov_b32_e32 v1, s5
	s_waitcnt vmcnt(0)
	v_mov_b32_e32 v2, s6
	v_mov_b32_e32 v3, s7
	v_mov_b32_e32 v4, 20
	v_mov_b32_e32 v5, s10
	v_mov_b32_e32 v6, s11
	s_swappc_b64 s[30:31], s[12:13]
	s_or_b64 s[26:27], s[26:27], exec
	s_or_b64 exec, exec, s[62:63]
	s_and_saveexec_b64 s[4:5], s[60:61]
	s_xor_b64 s[60:61], exec, s[4:5]
	s_cbranch_execnz .LBB7_332
	s_branch .LBB7_333
.LBB7_725:
	s_cbranch_execz .LBB7_752
; %bb.726:
	v_readfirstlane_b32 s4, v30
	s_waitcnt vmcnt(0)
	v_mov_b32_e32 v8, 0
	v_mov_b32_e32 v9, 0
	v_cmp_eq_u32_e64 s[4:5], s4, v30
	s_and_saveexec_b64 s[8:9], s[4:5]
	s_cbranch_execz .LBB7_732
; %bb.727:
	v_mov_b32_e32 v2, 0
	global_load_dwordx2 v[5:6], v2, s[6:7] offset:24 glc
	s_waitcnt vmcnt(0)
	buffer_wbinvl1_vol
	global_load_dwordx2 v[3:4], v2, s[6:7] offset:40
	global_load_dwordx2 v[7:8], v2, s[6:7]
	s_waitcnt vmcnt(1)
	v_and_b32_e32 v3, v3, v5
	v_and_b32_e32 v4, v4, v6
	v_mul_lo_u32 v4, v4, 24
	v_mul_hi_u32 v9, v3, 24
	v_mul_lo_u32 v3, v3, 24
	v_add_u32_e32 v4, v9, v4
	s_waitcnt vmcnt(0)
	v_add_co_u32_e32 v3, vcc, v7, v3
	v_addc_co_u32_e32 v4, vcc, v8, v4, vcc
	global_load_dwordx2 v[3:4], v[3:4], off glc
	s_waitcnt vmcnt(0)
	global_atomic_cmpswap_x2 v[8:9], v2, v[3:6], s[6:7] offset:24 glc
	s_waitcnt vmcnt(0)
	buffer_wbinvl1_vol
	v_cmp_ne_u64_e32 vcc, v[8:9], v[5:6]
	s_and_saveexec_b64 s[10:11], vcc
	s_cbranch_execz .LBB7_731
; %bb.728:
	s_mov_b64 s[12:13], 0
.LBB7_729:                              ; =>This Inner Loop Header: Depth=1
	s_sleep 1
	global_load_dwordx2 v[3:4], v2, s[6:7] offset:40
	global_load_dwordx2 v[10:11], v2, s[6:7]
	v_mov_b32_e32 v5, v8
	v_mov_b32_e32 v6, v9
	s_waitcnt vmcnt(1)
	v_and_b32_e32 v3, v3, v5
	s_waitcnt vmcnt(0)
	v_mad_u64_u32 v[7:8], s[14:15], v3, 24, v[10:11]
	v_and_b32_e32 v4, v4, v6
	v_mov_b32_e32 v3, v8
	v_mad_u64_u32 v[3:4], s[14:15], v4, 24, v[3:4]
	v_mov_b32_e32 v8, v3
	global_load_dwordx2 v[3:4], v[7:8], off glc
	s_waitcnt vmcnt(0)
	global_atomic_cmpswap_x2 v[8:9], v2, v[3:6], s[6:7] offset:24 glc
	s_waitcnt vmcnt(0)
	buffer_wbinvl1_vol
	v_cmp_eq_u64_e32 vcc, v[8:9], v[5:6]
	s_or_b64 s[12:13], vcc, s[12:13]
	s_andn2_b64 exec, exec, s[12:13]
	s_cbranch_execnz .LBB7_729
; %bb.730:
	s_or_b64 exec, exec, s[12:13]
.LBB7_731:
	s_or_b64 exec, exec, s[10:11]
.LBB7_732:
	s_or_b64 exec, exec, s[8:9]
	v_mov_b32_e32 v2, 0
	global_load_dwordx2 v[10:11], v2, s[6:7] offset:40
	global_load_dwordx4 v[4:7], v2, s[6:7]
	v_readfirstlane_b32 s9, v9
	v_readfirstlane_b32 s8, v8
	s_mov_b64 s[10:11], exec
	s_waitcnt vmcnt(1)
	v_readfirstlane_b32 s12, v10
	v_readfirstlane_b32 s13, v11
	s_and_b64 s[12:13], s[12:13], s[8:9]
	s_mul_i32 s14, s13, 24
	s_mul_hi_u32 s15, s12, 24
	s_mul_i32 s16, s12, 24
	s_add_i32 s14, s15, s14
	v_mov_b32_e32 v3, s14
	s_waitcnt vmcnt(0)
	v_add_co_u32_e32 v8, vcc, s16, v4
	v_addc_co_u32_e32 v9, vcc, v5, v3, vcc
	s_and_saveexec_b64 s[14:15], s[4:5]
	s_cbranch_execz .LBB7_734
; %bb.733:
	v_mov_b32_e32 v10, s10
	v_mov_b32_e32 v11, s11
	;; [unrolled: 1-line block ×4, first 2 shown]
	global_store_dwordx4 v[8:9], v[10:13], off offset:8
.LBB7_734:
	s_or_b64 exec, exec, s[14:15]
	s_lshl_b64 s[10:11], s[12:13], 12
	v_mov_b32_e32 v3, s11
	v_add_co_u32_e32 v6, vcc, s10, v6
	v_addc_co_u32_e32 v7, vcc, v7, v3, vcc
	s_movk_i32 s10, 0xff1d
	v_and_or_b32 v0, v0, s10, 34
	s_mov_b32 s12, 0
	v_mov_b32_e32 v3, v2
	v_readfirstlane_b32 s10, v6
	v_readfirstlane_b32 s11, v7
	s_mov_b32 s13, s12
	s_mov_b32 s14, s12
	;; [unrolled: 1-line block ×3, first 2 shown]
	s_nop 1
	global_store_dwordx4 v29, v[0:3], s[10:11]
	s_nop 0
	v_mov_b32_e32 v0, s12
	v_mov_b32_e32 v1, s13
	;; [unrolled: 1-line block ×4, first 2 shown]
	global_store_dwordx4 v29, v[0:3], s[10:11] offset:16
	global_store_dwordx4 v29, v[0:3], s[10:11] offset:32
	;; [unrolled: 1-line block ×3, first 2 shown]
	s_and_saveexec_b64 s[10:11], s[4:5]
	s_cbranch_execz .LBB7_742
; %bb.735:
	v_mov_b32_e32 v6, 0
	global_load_dwordx2 v[12:13], v6, s[6:7] offset:32 glc
	global_load_dwordx2 v[0:1], v6, s[6:7] offset:40
	v_mov_b32_e32 v10, s8
	v_mov_b32_e32 v11, s9
	s_waitcnt vmcnt(0)
	v_readfirstlane_b32 s12, v0
	v_readfirstlane_b32 s13, v1
	s_and_b64 s[12:13], s[12:13], s[8:9]
	s_mul_i32 s13, s13, 24
	s_mul_hi_u32 s14, s12, 24
	s_mul_i32 s12, s12, 24
	s_add_i32 s13, s14, s13
	v_mov_b32_e32 v0, s13
	v_add_co_u32_e32 v4, vcc, s12, v4
	v_addc_co_u32_e32 v5, vcc, v5, v0, vcc
	global_store_dwordx2 v[4:5], v[12:13], off
	s_waitcnt vmcnt(0)
	global_atomic_cmpswap_x2 v[2:3], v6, v[10:13], s[6:7] offset:32 glc
	s_waitcnt vmcnt(0)
	v_cmp_ne_u64_e32 vcc, v[2:3], v[12:13]
	s_and_saveexec_b64 s[12:13], vcc
	s_cbranch_execz .LBB7_738
; %bb.736:
	s_mov_b64 s[14:15], 0
.LBB7_737:                              ; =>This Inner Loop Header: Depth=1
	s_sleep 1
	global_store_dwordx2 v[4:5], v[2:3], off
	v_mov_b32_e32 v0, s8
	v_mov_b32_e32 v1, s9
	s_waitcnt vmcnt(0)
	global_atomic_cmpswap_x2 v[0:1], v6, v[0:3], s[6:7] offset:32 glc
	s_waitcnt vmcnt(0)
	v_cmp_eq_u64_e32 vcc, v[0:1], v[2:3]
	v_mov_b32_e32 v3, v1
	s_or_b64 s[14:15], vcc, s[14:15]
	v_mov_b32_e32 v2, v0
	s_andn2_b64 exec, exec, s[14:15]
	s_cbranch_execnz .LBB7_737
.LBB7_738:
	s_or_b64 exec, exec, s[12:13]
	v_mov_b32_e32 v3, 0
	global_load_dwordx2 v[0:1], v3, s[6:7] offset:16
	s_mov_b64 s[12:13], exec
	v_mbcnt_lo_u32_b32 v2, s12, 0
	v_mbcnt_hi_u32_b32 v2, s13, v2
	v_cmp_eq_u32_e32 vcc, 0, v2
	s_and_saveexec_b64 s[14:15], vcc
	s_cbranch_execz .LBB7_740
; %bb.739:
	s_bcnt1_i32_b64 s12, s[12:13]
	v_mov_b32_e32 v2, s12
	s_waitcnt vmcnt(0)
	global_atomic_add_x2 v[0:1], v[2:3], off offset:8
.LBB7_740:
	s_or_b64 exec, exec, s[14:15]
	s_waitcnt vmcnt(0)
	global_load_dwordx2 v[2:3], v[0:1], off offset:16
	s_waitcnt vmcnt(0)
	v_cmp_eq_u64_e32 vcc, 0, v[2:3]
	s_cbranch_vccnz .LBB7_742
; %bb.741:
	global_load_dword v0, v[0:1], off offset:24
	v_mov_b32_e32 v1, 0
	s_waitcnt vmcnt(0)
	v_readfirstlane_b32 s12, v0
	s_and_b32 m0, s12, 0xffffff
	global_store_dwordx2 v[2:3], v[0:1], off
	s_sendmsg sendmsg(MSG_INTERRUPT)
.LBB7_742:
	s_or_b64 exec, exec, s[10:11]
	s_branch .LBB7_746
.LBB7_743:                              ;   in Loop: Header=BB7_746 Depth=1
	s_or_b64 exec, exec, s[10:11]
	v_readfirstlane_b32 s10, v0
	s_cmp_eq_u32 s10, 0
	s_cbranch_scc1 .LBB7_745
; %bb.744:                              ;   in Loop: Header=BB7_746 Depth=1
	s_sleep 1
	s_cbranch_execnz .LBB7_746
	s_branch .LBB7_748
.LBB7_745:
	s_branch .LBB7_748
.LBB7_746:                              ; =>This Inner Loop Header: Depth=1
	v_mov_b32_e32 v0, 1
	s_and_saveexec_b64 s[10:11], s[4:5]
	s_cbranch_execz .LBB7_743
; %bb.747:                              ;   in Loop: Header=BB7_746 Depth=1
	global_load_dword v0, v[8:9], off offset:20 glc
	s_waitcnt vmcnt(0)
	buffer_wbinvl1_vol
	v_and_b32_e32 v0, 1, v0
	s_branch .LBB7_743
.LBB7_748:
	s_and_saveexec_b64 s[10:11], s[4:5]
	s_cbranch_execz .LBB7_751
; %bb.749:
	v_mov_b32_e32 v6, 0
	global_load_dwordx2 v[0:1], v6, s[6:7] offset:40
	global_load_dwordx2 v[9:10], v6, s[6:7] offset:24 glc
	global_load_dwordx2 v[2:3], v6, s[6:7]
	s_waitcnt vmcnt(2)
	v_readfirstlane_b32 s12, v0
	v_readfirstlane_b32 s13, v1
	s_add_u32 s14, s12, 1
	s_addc_u32 s15, s13, 0
	s_add_u32 s4, s14, s8
	s_addc_u32 s5, s15, s9
	s_cmp_eq_u64 s[4:5], 0
	s_cselect_b32 s5, s15, s5
	s_cselect_b32 s4, s14, s4
	s_and_b64 s[8:9], s[4:5], s[12:13]
	s_mul_i32 s9, s9, 24
	s_mul_hi_u32 s12, s8, 24
	s_mul_i32 s8, s8, 24
	s_add_i32 s9, s12, s9
	v_mov_b32_e32 v0, s9
	s_waitcnt vmcnt(0)
	v_add_co_u32_e32 v4, vcc, s8, v2
	v_addc_co_u32_e32 v5, vcc, v3, v0, vcc
	v_mov_b32_e32 v7, s4
	global_store_dwordx2 v[4:5], v[9:10], off
	v_mov_b32_e32 v8, s5
	s_waitcnt vmcnt(0)
	global_atomic_cmpswap_x2 v[2:3], v6, v[7:10], s[6:7] offset:24 glc
	s_mov_b64 s[8:9], 0
	s_waitcnt vmcnt(0)
	v_cmp_ne_u64_e32 vcc, v[2:3], v[9:10]
	s_and_b64 exec, exec, vcc
	s_cbranch_execz .LBB7_751
.LBB7_750:                              ; =>This Inner Loop Header: Depth=1
	s_sleep 1
	global_store_dwordx2 v[4:5], v[2:3], off
	v_mov_b32_e32 v0, s4
	v_mov_b32_e32 v1, s5
	s_waitcnt vmcnt(0)
	global_atomic_cmpswap_x2 v[0:1], v6, v[0:3], s[6:7] offset:24 glc
	s_waitcnt vmcnt(0)
	v_cmp_eq_u64_e32 vcc, v[0:1], v[2:3]
	v_mov_b32_e32 v3, v1
	s_or_b64 s[8:9], vcc, s[8:9]
	v_mov_b32_e32 v2, v0
	s_andn2_b64 exec, exec, s[8:9]
	s_cbranch_execnz .LBB7_750
.LBB7_751:
	s_or_b64 exec, exec, s[10:11]
.LBB7_752:
	s_add_u32 s8, s88, 0x80
	s_addc_u32 s9, s89, 0
	s_getpc_b64 s[4:5]
	s_add_u32 s4, s4, .str.29@rel32@lo+4
	s_addc_u32 s5, s5, .str.29@rel32@hi+12
	s_getpc_b64 s[6:7]
	s_add_u32 s6, s6, .str.19@rel32@lo+4
	s_addc_u32 s7, s7, .str.19@rel32@hi+12
	s_getpc_b64 s[10:11]
	s_add_u32 s10, s10, __PRETTY_FUNCTION__._ZN7VecsMemIjLi8192EE5fetchEi@rel32@lo+4
	s_addc_u32 s11, s11, __PRETTY_FUNCTION__._ZN7VecsMemIjLi8192EE5fetchEi@rel32@hi+12
	s_getpc_b64 s[12:13]
	s_add_u32 s12, s12, __assert_fail@rel32@lo+4
	s_addc_u32 s13, s13, __assert_fail@rel32@hi+12
	s_waitcnt vmcnt(0)
	v_mov_b32_e32 v0, s4
	v_mov_b32_e32 v1, s5
	v_mov_b32_e32 v2, s6
	v_mov_b32_e32 v3, s7
	v_mov_b32_e32 v4, 12
	v_mov_b32_e32 v5, s10
	v_mov_b32_e32 v6, s11
	s_swappc_b64 s[30:31], s[12:13]
	s_or_b64 s[26:27], s[26:27], exec
	s_or_b64 exec, exec, s[60:61]
	s_and_saveexec_b64 s[4:5], s[56:57]
	s_xor_b64 s[56:57], exec, s[4:5]
	s_cbranch_execz .LBB7_335
.LBB7_753:
	s_add_u32 s8, s88, 0x80
	s_addc_u32 s9, s89, 0
	s_getpc_b64 s[4:5]
	s_add_u32 s4, s4, .str.18@rel32@lo+4
	s_addc_u32 s5, s5, .str.18@rel32@hi+12
	s_getpc_b64 s[6:7]
	s_add_u32 s6, s6, .str.19@rel32@lo+4
	s_addc_u32 s7, s7, .str.19@rel32@hi+12
	s_getpc_b64 s[10:11]
	s_add_u32 s10, s10, __PRETTY_FUNCTION__._ZN7VecsMemIjLi8192EE6shrinkEi@rel32@lo+4
	s_addc_u32 s11, s11, __PRETTY_FUNCTION__._ZN7VecsMemIjLi8192EE6shrinkEi@rel32@hi+12
	s_getpc_b64 s[12:13]
	s_add_u32 s12, s12, __assert_fail@rel32@lo+4
	s_addc_u32 s13, s13, __assert_fail@rel32@hi+12
	v_mov_b32_e32 v0, s4
	v_mov_b32_e32 v1, s5
	s_waitcnt vmcnt(0)
	v_mov_b32_e32 v2, s6
	v_mov_b32_e32 v3, s7
	;; [unrolled: 1-line block ×5, first 2 shown]
	s_swappc_b64 s[30:31], s[12:13]
	s_or_b64 s[26:27], s[26:27], exec
	s_or_b64 exec, exec, s[56:57]
	s_and_saveexec_b64 s[4:5], s[54:55]
	s_xor_b64 s[54:55], exec, s[4:5]
	s_cbranch_execnz .LBB7_336
	s_branch .LBB7_337
.LBB7_754:
	s_cbranch_execz .LBB7_781
; %bb.755:
	v_readfirstlane_b32 s4, v30
	s_waitcnt vmcnt(0)
	v_mov_b32_e32 v8, 0
	v_mov_b32_e32 v9, 0
	v_cmp_eq_u32_e64 s[4:5], s4, v30
	s_and_saveexec_b64 s[8:9], s[4:5]
	s_cbranch_execz .LBB7_761
; %bb.756:
	v_mov_b32_e32 v2, 0
	global_load_dwordx2 v[5:6], v2, s[6:7] offset:24 glc
	s_waitcnt vmcnt(0)
	buffer_wbinvl1_vol
	global_load_dwordx2 v[3:4], v2, s[6:7] offset:40
	global_load_dwordx2 v[7:8], v2, s[6:7]
	s_waitcnt vmcnt(1)
	v_and_b32_e32 v3, v3, v5
	v_and_b32_e32 v4, v4, v6
	v_mul_lo_u32 v4, v4, 24
	v_mul_hi_u32 v9, v3, 24
	v_mul_lo_u32 v3, v3, 24
	v_add_u32_e32 v4, v9, v4
	s_waitcnt vmcnt(0)
	v_add_co_u32_e32 v3, vcc, v7, v3
	v_addc_co_u32_e32 v4, vcc, v8, v4, vcc
	global_load_dwordx2 v[3:4], v[3:4], off glc
	s_waitcnt vmcnt(0)
	global_atomic_cmpswap_x2 v[8:9], v2, v[3:6], s[6:7] offset:24 glc
	s_waitcnt vmcnt(0)
	buffer_wbinvl1_vol
	v_cmp_ne_u64_e32 vcc, v[8:9], v[5:6]
	s_and_saveexec_b64 s[10:11], vcc
	s_cbranch_execz .LBB7_760
; %bb.757:
	s_mov_b64 s[12:13], 0
.LBB7_758:                              ; =>This Inner Loop Header: Depth=1
	s_sleep 1
	global_load_dwordx2 v[3:4], v2, s[6:7] offset:40
	global_load_dwordx2 v[10:11], v2, s[6:7]
	v_mov_b32_e32 v5, v8
	v_mov_b32_e32 v6, v9
	s_waitcnt vmcnt(1)
	v_and_b32_e32 v3, v3, v5
	s_waitcnt vmcnt(0)
	v_mad_u64_u32 v[7:8], s[14:15], v3, 24, v[10:11]
	v_and_b32_e32 v4, v4, v6
	v_mov_b32_e32 v3, v8
	v_mad_u64_u32 v[3:4], s[14:15], v4, 24, v[3:4]
	v_mov_b32_e32 v8, v3
	global_load_dwordx2 v[3:4], v[7:8], off glc
	s_waitcnt vmcnt(0)
	global_atomic_cmpswap_x2 v[8:9], v2, v[3:6], s[6:7] offset:24 glc
	s_waitcnt vmcnt(0)
	buffer_wbinvl1_vol
	v_cmp_eq_u64_e32 vcc, v[8:9], v[5:6]
	s_or_b64 s[12:13], vcc, s[12:13]
	s_andn2_b64 exec, exec, s[12:13]
	s_cbranch_execnz .LBB7_758
; %bb.759:
	s_or_b64 exec, exec, s[12:13]
.LBB7_760:
	s_or_b64 exec, exec, s[10:11]
.LBB7_761:
	s_or_b64 exec, exec, s[8:9]
	v_mov_b32_e32 v2, 0
	global_load_dwordx2 v[10:11], v2, s[6:7] offset:40
	global_load_dwordx4 v[4:7], v2, s[6:7]
	v_readfirstlane_b32 s9, v9
	v_readfirstlane_b32 s8, v8
	s_mov_b64 s[10:11], exec
	s_waitcnt vmcnt(1)
	v_readfirstlane_b32 s12, v10
	v_readfirstlane_b32 s13, v11
	s_and_b64 s[12:13], s[12:13], s[8:9]
	s_mul_i32 s14, s13, 24
	s_mul_hi_u32 s15, s12, 24
	s_mul_i32 s16, s12, 24
	s_add_i32 s14, s15, s14
	v_mov_b32_e32 v3, s14
	s_waitcnt vmcnt(0)
	v_add_co_u32_e32 v8, vcc, s16, v4
	v_addc_co_u32_e32 v9, vcc, v5, v3, vcc
	s_and_saveexec_b64 s[14:15], s[4:5]
	s_cbranch_execz .LBB7_763
; %bb.762:
	v_mov_b32_e32 v10, s10
	v_mov_b32_e32 v11, s11
	;; [unrolled: 1-line block ×4, first 2 shown]
	global_store_dwordx4 v[8:9], v[10:13], off offset:8
.LBB7_763:
	s_or_b64 exec, exec, s[14:15]
	s_lshl_b64 s[10:11], s[12:13], 12
	v_mov_b32_e32 v3, s11
	v_add_co_u32_e32 v6, vcc, s10, v6
	v_addc_co_u32_e32 v7, vcc, v7, v3, vcc
	s_movk_i32 s10, 0xff1d
	v_and_or_b32 v0, v0, s10, 34
	s_mov_b32 s12, 0
	v_mov_b32_e32 v3, v2
	v_readfirstlane_b32 s10, v6
	v_readfirstlane_b32 s11, v7
	s_mov_b32 s13, s12
	s_mov_b32 s14, s12
	s_mov_b32 s15, s12
	s_nop 1
	global_store_dwordx4 v29, v[0:3], s[10:11]
	s_nop 0
	v_mov_b32_e32 v0, s12
	v_mov_b32_e32 v1, s13
	;; [unrolled: 1-line block ×4, first 2 shown]
	global_store_dwordx4 v29, v[0:3], s[10:11] offset:16
	global_store_dwordx4 v29, v[0:3], s[10:11] offset:32
	;; [unrolled: 1-line block ×3, first 2 shown]
	s_and_saveexec_b64 s[10:11], s[4:5]
	s_cbranch_execz .LBB7_771
; %bb.764:
	v_mov_b32_e32 v6, 0
	global_load_dwordx2 v[12:13], v6, s[6:7] offset:32 glc
	global_load_dwordx2 v[0:1], v6, s[6:7] offset:40
	v_mov_b32_e32 v10, s8
	v_mov_b32_e32 v11, s9
	s_waitcnt vmcnt(0)
	v_readfirstlane_b32 s12, v0
	v_readfirstlane_b32 s13, v1
	s_and_b64 s[12:13], s[12:13], s[8:9]
	s_mul_i32 s13, s13, 24
	s_mul_hi_u32 s14, s12, 24
	s_mul_i32 s12, s12, 24
	s_add_i32 s13, s14, s13
	v_mov_b32_e32 v0, s13
	v_add_co_u32_e32 v4, vcc, s12, v4
	v_addc_co_u32_e32 v5, vcc, v5, v0, vcc
	global_store_dwordx2 v[4:5], v[12:13], off
	s_waitcnt vmcnt(0)
	global_atomic_cmpswap_x2 v[2:3], v6, v[10:13], s[6:7] offset:32 glc
	s_waitcnt vmcnt(0)
	v_cmp_ne_u64_e32 vcc, v[2:3], v[12:13]
	s_and_saveexec_b64 s[12:13], vcc
	s_cbranch_execz .LBB7_767
; %bb.765:
	s_mov_b64 s[14:15], 0
.LBB7_766:                              ; =>This Inner Loop Header: Depth=1
	s_sleep 1
	global_store_dwordx2 v[4:5], v[2:3], off
	v_mov_b32_e32 v0, s8
	v_mov_b32_e32 v1, s9
	s_waitcnt vmcnt(0)
	global_atomic_cmpswap_x2 v[0:1], v6, v[0:3], s[6:7] offset:32 glc
	s_waitcnt vmcnt(0)
	v_cmp_eq_u64_e32 vcc, v[0:1], v[2:3]
	v_mov_b32_e32 v3, v1
	s_or_b64 s[14:15], vcc, s[14:15]
	v_mov_b32_e32 v2, v0
	s_andn2_b64 exec, exec, s[14:15]
	s_cbranch_execnz .LBB7_766
.LBB7_767:
	s_or_b64 exec, exec, s[12:13]
	v_mov_b32_e32 v3, 0
	global_load_dwordx2 v[0:1], v3, s[6:7] offset:16
	s_mov_b64 s[12:13], exec
	v_mbcnt_lo_u32_b32 v2, s12, 0
	v_mbcnt_hi_u32_b32 v2, s13, v2
	v_cmp_eq_u32_e32 vcc, 0, v2
	s_and_saveexec_b64 s[14:15], vcc
	s_cbranch_execz .LBB7_769
; %bb.768:
	s_bcnt1_i32_b64 s12, s[12:13]
	v_mov_b32_e32 v2, s12
	s_waitcnt vmcnt(0)
	global_atomic_add_x2 v[0:1], v[2:3], off offset:8
.LBB7_769:
	s_or_b64 exec, exec, s[14:15]
	s_waitcnt vmcnt(0)
	global_load_dwordx2 v[2:3], v[0:1], off offset:16
	s_waitcnt vmcnt(0)
	v_cmp_eq_u64_e32 vcc, 0, v[2:3]
	s_cbranch_vccnz .LBB7_771
; %bb.770:
	global_load_dword v0, v[0:1], off offset:24
	v_mov_b32_e32 v1, 0
	s_waitcnt vmcnt(0)
	v_readfirstlane_b32 s12, v0
	s_and_b32 m0, s12, 0xffffff
	global_store_dwordx2 v[2:3], v[0:1], off
	s_sendmsg sendmsg(MSG_INTERRUPT)
.LBB7_771:
	s_or_b64 exec, exec, s[10:11]
	s_branch .LBB7_775
.LBB7_772:                              ;   in Loop: Header=BB7_775 Depth=1
	s_or_b64 exec, exec, s[10:11]
	v_readfirstlane_b32 s10, v0
	s_cmp_eq_u32 s10, 0
	s_cbranch_scc1 .LBB7_774
; %bb.773:                              ;   in Loop: Header=BB7_775 Depth=1
	s_sleep 1
	s_cbranch_execnz .LBB7_775
	s_branch .LBB7_777
.LBB7_774:
	s_branch .LBB7_777
.LBB7_775:                              ; =>This Inner Loop Header: Depth=1
	v_mov_b32_e32 v0, 1
	s_and_saveexec_b64 s[10:11], s[4:5]
	s_cbranch_execz .LBB7_772
; %bb.776:                              ;   in Loop: Header=BB7_775 Depth=1
	global_load_dword v0, v[8:9], off offset:20 glc
	s_waitcnt vmcnt(0)
	buffer_wbinvl1_vol
	v_and_b32_e32 v0, 1, v0
	s_branch .LBB7_772
.LBB7_777:
	s_and_saveexec_b64 s[10:11], s[4:5]
	s_cbranch_execz .LBB7_780
; %bb.778:
	v_mov_b32_e32 v6, 0
	global_load_dwordx2 v[0:1], v6, s[6:7] offset:40
	global_load_dwordx2 v[9:10], v6, s[6:7] offset:24 glc
	global_load_dwordx2 v[2:3], v6, s[6:7]
	s_waitcnt vmcnt(2)
	v_readfirstlane_b32 s12, v0
	v_readfirstlane_b32 s13, v1
	s_add_u32 s14, s12, 1
	s_addc_u32 s15, s13, 0
	s_add_u32 s4, s14, s8
	s_addc_u32 s5, s15, s9
	s_cmp_eq_u64 s[4:5], 0
	s_cselect_b32 s5, s15, s5
	s_cselect_b32 s4, s14, s4
	s_and_b64 s[8:9], s[4:5], s[12:13]
	s_mul_i32 s9, s9, 24
	s_mul_hi_u32 s12, s8, 24
	s_mul_i32 s8, s8, 24
	s_add_i32 s9, s12, s9
	v_mov_b32_e32 v0, s9
	s_waitcnt vmcnt(0)
	v_add_co_u32_e32 v4, vcc, s8, v2
	v_addc_co_u32_e32 v5, vcc, v3, v0, vcc
	v_mov_b32_e32 v7, s4
	global_store_dwordx2 v[4:5], v[9:10], off
	v_mov_b32_e32 v8, s5
	s_waitcnt vmcnt(0)
	global_atomic_cmpswap_x2 v[2:3], v6, v[7:10], s[6:7] offset:24 glc
	s_mov_b64 s[8:9], 0
	s_waitcnt vmcnt(0)
	v_cmp_ne_u64_e32 vcc, v[2:3], v[9:10]
	s_and_b64 exec, exec, vcc
	s_cbranch_execz .LBB7_780
.LBB7_779:                              ; =>This Inner Loop Header: Depth=1
	s_sleep 1
	global_store_dwordx2 v[4:5], v[2:3], off
	v_mov_b32_e32 v0, s4
	v_mov_b32_e32 v1, s5
	s_waitcnt vmcnt(0)
	global_atomic_cmpswap_x2 v[0:1], v6, v[0:3], s[6:7] offset:24 glc
	s_waitcnt vmcnt(0)
	v_cmp_eq_u64_e32 vcc, v[0:1], v[2:3]
	v_mov_b32_e32 v3, v1
	s_or_b64 s[8:9], vcc, s[8:9]
	v_mov_b32_e32 v2, v0
	s_andn2_b64 exec, exec, s[8:9]
	s_cbranch_execnz .LBB7_779
.LBB7_780:
	s_or_b64 exec, exec, s[10:11]
.LBB7_781:
	s_add_u32 s8, s88, 0x80
	s_addc_u32 s9, s89, 0
	s_getpc_b64 s[4:5]
	s_add_u32 s4, s4, .str.29@rel32@lo+4
	s_addc_u32 s5, s5, .str.29@rel32@hi+12
	s_getpc_b64 s[6:7]
	s_add_u32 s6, s6, .str.19@rel32@lo+4
	s_addc_u32 s7, s7, .str.19@rel32@hi+12
	s_getpc_b64 s[10:11]
	s_add_u32 s10, s10, __PRETTY_FUNCTION__._ZN7VecsMemIjLi8192EE5fetchEi@rel32@lo+4
	s_addc_u32 s11, s11, __PRETTY_FUNCTION__._ZN7VecsMemIjLi8192EE5fetchEi@rel32@hi+12
	s_getpc_b64 s[12:13]
	s_add_u32 s12, s12, __assert_fail@rel32@lo+4
	s_addc_u32 s13, s13, __assert_fail@rel32@hi+12
	s_waitcnt vmcnt(0)
	v_mov_b32_e32 v0, s4
	v_mov_b32_e32 v1, s5
	;; [unrolled: 1-line block ×7, first 2 shown]
	s_swappc_b64 s[30:31], s[12:13]
	s_or_b64 s[26:27], s[26:27], exec
	s_or_b64 exec, exec, s[48:49]
	s_and_saveexec_b64 s[4:5], s[44:45]
	s_xor_b64 s[44:45], exec, s[4:5]
	s_cbranch_execz .LBB7_345
.LBB7_782:
	s_add_u32 s8, s88, 0x80
	s_addc_u32 s9, s89, 0
	s_getpc_b64 s[4:5]
	s_add_u32 s4, s4, .str.30@rel32@lo+4
	s_addc_u32 s5, s5, .str.30@rel32@hi+12
	s_getpc_b64 s[6:7]
	s_add_u32 s6, s6, .str.31@rel32@lo+4
	s_addc_u32 s7, s7, .str.31@rel32@hi+12
	s_getpc_b64 s[10:11]
	s_add_u32 s10, s10, __PRETTY_FUNCTION__._ZN3sop9sopFactorEPjiiPKiiP7VecsMemIjLi8192EEPN8subgUtil4SubgILi256EEE@rel32@lo+4
	s_addc_u32 s11, s11, __PRETTY_FUNCTION__._ZN3sop9sopFactorEPjiiPKiiP7VecsMemIjLi8192EEPN8subgUtil4SubgILi256EEE@rel32@hi+12
	s_getpc_b64 s[12:13]
	s_add_u32 s12, s12, __assert_fail@rel32@lo+4
	s_addc_u32 s13, s13, __assert_fail@rel32@hi+12
	v_mov_b32_e32 v0, s4
	v_mov_b32_e32 v1, s5
	s_waitcnt vmcnt(0)
	v_mov_b32_e32 v2, s6
	v_mov_b32_e32 v3, s7
	;; [unrolled: 1-line block ×5, first 2 shown]
	s_swappc_b64 s[30:31], s[12:13]
	s_or_b64 s[26:27], s[26:27], exec
	s_or_b64 exec, exec, s[44:45]
	s_and_saveexec_b64 s[44:45], s[42:43]
	s_cbranch_execz .LBB7_346
.LBB7_783:
	s_add_u32 s8, s88, 0x80
	s_addc_u32 s9, s89, 0
	s_getpc_b64 s[4:5]
	s_add_u32 s4, s4, .str.18@rel32@lo+4
	s_addc_u32 s5, s5, .str.18@rel32@hi+12
	s_getpc_b64 s[6:7]
	s_add_u32 s6, s6, .str.19@rel32@lo+4
	s_addc_u32 s7, s7, .str.19@rel32@hi+12
	s_getpc_b64 s[10:11]
	s_add_u32 s10, s10, __PRETTY_FUNCTION__._ZN7VecsMemIjLi8192EE6shrinkEi@rel32@lo+4
	s_addc_u32 s11, s11, __PRETTY_FUNCTION__._ZN7VecsMemIjLi8192EE6shrinkEi@rel32@hi+12
	s_getpc_b64 s[12:13]
	s_add_u32 s12, s12, __assert_fail@rel32@lo+4
	s_addc_u32 s13, s13, __assert_fail@rel32@hi+12
	v_mov_b32_e32 v0, s4
	v_mov_b32_e32 v1, s5
	s_waitcnt vmcnt(0)
	v_mov_b32_e32 v2, s6
	v_mov_b32_e32 v3, s7
	;; [unrolled: 1-line block ×5, first 2 shown]
	s_swappc_b64 s[30:31], s[12:13]
	s_or_b64 s[26:27], s[26:27], exec
	s_or_b64 exec, exec, s[44:45]
	s_and_saveexec_b64 s[4:5], s[40:41]
	s_xor_b64 s[40:41], exec, s[4:5]
	s_cbranch_execz .LBB7_347
.LBB7_784:
	s_add_u32 s8, s88, 0x80
	s_addc_u32 s9, s89, 0
	s_getpc_b64 s[4:5]
	s_add_u32 s4, s4, .str.18@rel32@lo+4
	s_addc_u32 s5, s5, .str.18@rel32@hi+12
	s_getpc_b64 s[6:7]
	s_add_u32 s6, s6, .str.19@rel32@lo+4
	s_addc_u32 s7, s7, .str.19@rel32@hi+12
	s_getpc_b64 s[10:11]
	s_add_u32 s10, s10, __PRETTY_FUNCTION__._ZN7VecsMemIjLi8192EE6shrinkEi@rel32@lo+4
	s_addc_u32 s11, s11, __PRETTY_FUNCTION__._ZN7VecsMemIjLi8192EE6shrinkEi@rel32@hi+12
	s_getpc_b64 s[12:13]
	s_add_u32 s12, s12, __assert_fail@rel32@lo+4
	s_addc_u32 s13, s13, __assert_fail@rel32@hi+12
	v_mov_b32_e32 v0, s4
	v_mov_b32_e32 v1, s5
	s_waitcnt vmcnt(0)
	v_mov_b32_e32 v2, s6
	v_mov_b32_e32 v3, s7
	;; [unrolled: 1-line block ×5, first 2 shown]
	s_swappc_b64 s[30:31], s[12:13]
	s_or_b64 s[26:27], s[26:27], exec
	s_or_b64 exec, exec, s[40:41]
	s_and_saveexec_b64 s[4:5], s[38:39]
	s_xor_b64 s[38:39], exec, s[4:5]
	s_cbranch_execz .LBB7_348
.LBB7_785:
	s_add_u32 s8, s88, 0x80
	s_addc_u32 s9, s89, 0
	s_getpc_b64 s[4:5]
	s_add_u32 s4, s4, .str.17@rel32@lo+4
	s_addc_u32 s5, s5, .str.17@rel32@hi+12
	s_getpc_b64 s[6:7]
	s_add_u32 s6, s6, .str.16@rel32@lo+4
	s_addc_u32 s7, s7, .str.16@rel32@hi+12
	s_getpc_b64 s[10:11]
	s_add_u32 s10, s10, __PRETTY_FUNCTION__._ZN3sop10minatoIsopEPKjiP7VecsMemIjLi8192EE@rel32@lo+4
	s_addc_u32 s11, s11, __PRETTY_FUNCTION__._ZN3sop10minatoIsopEPKjiP7VecsMemIjLi8192EE@rel32@hi+12
	s_getpc_b64 s[12:13]
	s_add_u32 s12, s12, __assert_fail@rel32@lo+4
	s_addc_u32 s13, s13, __assert_fail@rel32@hi+12
	v_mov_b32_e32 v0, s4
	v_mov_b32_e32 v1, s5
	s_waitcnt vmcnt(0)
	v_mov_b32_e32 v2, s6
	v_mov_b32_e32 v3, s7
	v_mov_b32_e32 v4, 0xc2
	v_mov_b32_e32 v5, s10
	v_mov_b32_e32 v6, s11
	s_swappc_b64 s[30:31], s[12:13]
	s_or_b64 s[26:27], s[26:27], exec
	s_or_b64 exec, exec, s[38:39]
	s_and_saveexec_b64 s[38:39], s[36:37]
	s_cbranch_execz .LBB7_349
.LBB7_786:
	v_readlane_b32 s4, v62, 0
	v_readlane_b32 s5, v62, 1
	s_load_dwordx2 s[6:7], s[4:5], 0x50
	v_mbcnt_lo_u32_b32 v0, -1, 0
	v_mbcnt_hi_u32_b32 v30, -1, v0
	v_readfirstlane_b32 s4, v30
	v_mov_b32_e32 v5, 0
	v_mov_b32_e32 v6, 0
	v_cmp_eq_u32_e64 s[4:5], s4, v30
	s_and_saveexec_b64 s[8:9], s[4:5]
	s_cbranch_execz .LBB7_792
; %bb.787:
	v_mov_b32_e32 v0, 0
	s_waitcnt lgkmcnt(0)
	global_load_dwordx2 v[3:4], v0, s[6:7] offset:24 glc
	s_waitcnt vmcnt(0)
	buffer_wbinvl1_vol
	global_load_dwordx2 v[1:2], v0, s[6:7] offset:40
	global_load_dwordx2 v[5:6], v0, s[6:7]
	s_waitcnt vmcnt(1)
	v_and_b32_e32 v1, v1, v3
	v_and_b32_e32 v2, v2, v4
	v_mul_lo_u32 v2, v2, 24
	v_mul_hi_u32 v7, v1, 24
	v_mul_lo_u32 v1, v1, 24
	v_add_u32_e32 v2, v7, v2
	s_waitcnt vmcnt(0)
	v_add_co_u32_e32 v1, vcc, v5, v1
	v_addc_co_u32_e32 v2, vcc, v6, v2, vcc
	global_load_dwordx2 v[1:2], v[1:2], off glc
	s_waitcnt vmcnt(0)
	global_atomic_cmpswap_x2 v[5:6], v0, v[1:4], s[6:7] offset:24 glc
	s_waitcnt vmcnt(0)
	buffer_wbinvl1_vol
	v_cmp_ne_u64_e32 vcc, v[5:6], v[3:4]
	s_and_saveexec_b64 s[10:11], vcc
	s_cbranch_execz .LBB7_791
; %bb.788:
	s_mov_b64 s[12:13], 0
.LBB7_789:                              ; =>This Inner Loop Header: Depth=1
	s_sleep 1
	global_load_dwordx2 v[1:2], v0, s[6:7] offset:40
	global_load_dwordx2 v[7:8], v0, s[6:7]
	v_mov_b32_e32 v3, v5
	v_mov_b32_e32 v4, v6
	s_waitcnt vmcnt(1)
	v_and_b32_e32 v1, v1, v3
	s_waitcnt vmcnt(0)
	v_mad_u64_u32 v[5:6], s[14:15], v1, 24, v[7:8]
	v_and_b32_e32 v2, v2, v4
	v_mov_b32_e32 v1, v6
	v_mad_u64_u32 v[1:2], s[14:15], v2, 24, v[1:2]
	v_mov_b32_e32 v6, v1
	global_load_dwordx2 v[1:2], v[5:6], off glc
	s_waitcnt vmcnt(0)
	global_atomic_cmpswap_x2 v[5:6], v0, v[1:4], s[6:7] offset:24 glc
	s_waitcnt vmcnt(0)
	buffer_wbinvl1_vol
	v_cmp_eq_u64_e32 vcc, v[5:6], v[3:4]
	s_or_b64 s[12:13], vcc, s[12:13]
	s_andn2_b64 exec, exec, s[12:13]
	s_cbranch_execnz .LBB7_789
; %bb.790:
	s_or_b64 exec, exec, s[12:13]
.LBB7_791:
	s_or_b64 exec, exec, s[10:11]
.LBB7_792:
	s_or_b64 exec, exec, s[8:9]
	v_mov_b32_e32 v4, 0
	s_waitcnt lgkmcnt(0)
	global_load_dwordx2 v[7:8], v4, s[6:7] offset:40
	global_load_dwordx4 v[0:3], v4, s[6:7]
	v_readfirstlane_b32 s9, v6
	v_readfirstlane_b32 s8, v5
	s_mov_b64 s[10:11], exec
	s_waitcnt vmcnt(1)
	v_readfirstlane_b32 s12, v7
	v_readfirstlane_b32 s13, v8
	s_and_b64 s[12:13], s[12:13], s[8:9]
	s_mul_i32 s14, s13, 24
	s_mul_hi_u32 s15, s12, 24
	s_mul_i32 s16, s12, 24
	s_add_i32 s14, s15, s14
	v_mov_b32_e32 v5, s14
	s_waitcnt vmcnt(0)
	v_add_co_u32_e32 v7, vcc, s16, v0
	v_addc_co_u32_e32 v8, vcc, v1, v5, vcc
	s_and_saveexec_b64 s[14:15], s[4:5]
	s_cbranch_execz .LBB7_794
; %bb.793:
	v_mov_b32_e32 v9, s10
	v_mov_b32_e32 v10, s11
	;; [unrolled: 1-line block ×4, first 2 shown]
	global_store_dwordx4 v[7:8], v[9:12], off offset:8
.LBB7_794:
	s_or_b64 exec, exec, s[14:15]
	s_lshl_b64 s[10:11], s[12:13], 12
	v_mov_b32_e32 v5, s11
	v_add_co_u32_e32 v2, vcc, s10, v2
	v_addc_co_u32_e32 v11, vcc, v3, v5, vcc
	v_lshlrev_b32_e32 v29, 6, v30
	s_mov_b32 s12, 0
	v_mov_b32_e32 v3, 33
	v_mov_b32_e32 v5, v4
	;; [unrolled: 1-line block ×3, first 2 shown]
	v_readfirstlane_b32 s10, v2
	v_readfirstlane_b32 s11, v11
	v_add_co_u32_e32 v9, vcc, v2, v29
	s_mov_b32 s13, s12
	s_mov_b32 s14, s12
	s_mov_b32 s15, s12
	s_nop 0
	global_store_dwordx4 v29, v[3:6], s[10:11]
	v_mov_b32_e32 v2, s12
	v_addc_co_u32_e32 v10, vcc, 0, v11, vcc
	v_mov_b32_e32 v3, s13
	v_mov_b32_e32 v4, s14
	;; [unrolled: 1-line block ×3, first 2 shown]
	global_store_dwordx4 v29, v[2:5], s[10:11] offset:16
	global_store_dwordx4 v29, v[2:5], s[10:11] offset:32
	;; [unrolled: 1-line block ×3, first 2 shown]
	s_and_saveexec_b64 s[10:11], s[4:5]
	s_cbranch_execz .LBB7_802
; %bb.795:
	v_mov_b32_e32 v6, 0
	global_load_dwordx2 v[13:14], v6, s[6:7] offset:32 glc
	global_load_dwordx2 v[2:3], v6, s[6:7] offset:40
	v_mov_b32_e32 v11, s8
	v_mov_b32_e32 v12, s9
	s_waitcnt vmcnt(0)
	v_and_b32_e32 v2, s8, v2
	v_and_b32_e32 v3, s9, v3
	v_mul_lo_u32 v3, v3, 24
	v_mul_hi_u32 v4, v2, 24
	v_mul_lo_u32 v2, v2, 24
	v_add_u32_e32 v3, v4, v3
	v_add_co_u32_e32 v4, vcc, v0, v2
	v_addc_co_u32_e32 v5, vcc, v1, v3, vcc
	global_store_dwordx2 v[4:5], v[13:14], off
	s_waitcnt vmcnt(0)
	global_atomic_cmpswap_x2 v[2:3], v6, v[11:14], s[6:7] offset:32 glc
	s_waitcnt vmcnt(0)
	v_cmp_ne_u64_e32 vcc, v[2:3], v[13:14]
	s_and_saveexec_b64 s[12:13], vcc
	s_cbranch_execz .LBB7_798
; %bb.796:
	s_mov_b64 s[14:15], 0
.LBB7_797:                              ; =>This Inner Loop Header: Depth=1
	s_sleep 1
	global_store_dwordx2 v[4:5], v[2:3], off
	v_mov_b32_e32 v0, s8
	v_mov_b32_e32 v1, s9
	s_waitcnt vmcnt(0)
	global_atomic_cmpswap_x2 v[0:1], v6, v[0:3], s[6:7] offset:32 glc
	s_waitcnt vmcnt(0)
	v_cmp_eq_u64_e32 vcc, v[0:1], v[2:3]
	v_mov_b32_e32 v3, v1
	s_or_b64 s[14:15], vcc, s[14:15]
	v_mov_b32_e32 v2, v0
	s_andn2_b64 exec, exec, s[14:15]
	s_cbranch_execnz .LBB7_797
.LBB7_798:
	s_or_b64 exec, exec, s[12:13]
	v_mov_b32_e32 v3, 0
	global_load_dwordx2 v[0:1], v3, s[6:7] offset:16
	s_mov_b64 s[12:13], exec
	v_mbcnt_lo_u32_b32 v2, s12, 0
	v_mbcnt_hi_u32_b32 v2, s13, v2
	v_cmp_eq_u32_e32 vcc, 0, v2
	s_and_saveexec_b64 s[14:15], vcc
	s_cbranch_execz .LBB7_800
; %bb.799:
	s_bcnt1_i32_b64 s12, s[12:13]
	v_mov_b32_e32 v2, s12
	s_waitcnt vmcnt(0)
	global_atomic_add_x2 v[0:1], v[2:3], off offset:8
.LBB7_800:
	s_or_b64 exec, exec, s[14:15]
	s_waitcnt vmcnt(0)
	global_load_dwordx2 v[2:3], v[0:1], off offset:16
	s_waitcnt vmcnt(0)
	v_cmp_eq_u64_e32 vcc, 0, v[2:3]
	s_cbranch_vccnz .LBB7_802
; %bb.801:
	global_load_dword v0, v[0:1], off offset:24
	v_mov_b32_e32 v1, 0
	s_waitcnt vmcnt(0)
	v_readfirstlane_b32 s12, v0
	s_and_b32 m0, s12, 0xffffff
	global_store_dwordx2 v[2:3], v[0:1], off
	s_sendmsg sendmsg(MSG_INTERRUPT)
.LBB7_802:
	s_or_b64 exec, exec, s[10:11]
	s_branch .LBB7_806
.LBB7_803:                              ;   in Loop: Header=BB7_806 Depth=1
	s_or_b64 exec, exec, s[10:11]
	v_readfirstlane_b32 s10, v0
	s_cmp_eq_u32 s10, 0
	s_cbranch_scc1 .LBB7_805
; %bb.804:                              ;   in Loop: Header=BB7_806 Depth=1
	s_sleep 1
	s_cbranch_execnz .LBB7_806
	s_branch .LBB7_808
.LBB7_805:
	s_branch .LBB7_808
.LBB7_806:                              ; =>This Inner Loop Header: Depth=1
	v_mov_b32_e32 v0, 1
	s_and_saveexec_b64 s[10:11], s[4:5]
	s_cbranch_execz .LBB7_803
; %bb.807:                              ;   in Loop: Header=BB7_806 Depth=1
	global_load_dword v0, v[7:8], off offset:20 glc
	s_waitcnt vmcnt(0)
	buffer_wbinvl1_vol
	v_and_b32_e32 v0, 1, v0
	s_branch .LBB7_803
.LBB7_808:
	global_load_dwordx2 v[0:1], v[9:10], off
	s_and_saveexec_b64 s[10:11], s[4:5]
	s_cbranch_execz .LBB7_811
; %bb.809:
	v_mov_b32_e32 v8, 0
	global_load_dwordx2 v[2:3], v8, s[6:7] offset:40
	global_load_dwordx2 v[11:12], v8, s[6:7] offset:24 glc
	global_load_dwordx2 v[4:5], v8, s[6:7]
	s_waitcnt vmcnt(2)
	v_readfirstlane_b32 s12, v2
	v_readfirstlane_b32 s13, v3
	s_add_u32 s14, s12, 1
	s_addc_u32 s15, s13, 0
	s_add_u32 s4, s14, s8
	s_addc_u32 s5, s15, s9
	s_cmp_eq_u64 s[4:5], 0
	s_cselect_b32 s5, s15, s5
	s_cselect_b32 s4, s14, s4
	s_and_b64 s[8:9], s[4:5], s[12:13]
	s_mul_i32 s9, s9, 24
	s_mul_hi_u32 s12, s8, 24
	s_mul_i32 s8, s8, 24
	s_add_i32 s9, s12, s9
	v_mov_b32_e32 v2, s9
	s_waitcnt vmcnt(0)
	v_add_co_u32_e32 v6, vcc, s8, v4
	v_addc_co_u32_e32 v7, vcc, v5, v2, vcc
	v_mov_b32_e32 v9, s4
	global_store_dwordx2 v[6:7], v[11:12], off
	v_mov_b32_e32 v10, s5
	s_waitcnt vmcnt(0)
	global_atomic_cmpswap_x2 v[4:5], v8, v[9:12], s[6:7] offset:24 glc
	s_mov_b64 s[8:9], 0
	s_waitcnt vmcnt(0)
	v_cmp_ne_u64_e32 vcc, v[4:5], v[11:12]
	s_and_b64 exec, exec, vcc
	s_cbranch_execz .LBB7_811
.LBB7_810:                              ; =>This Inner Loop Header: Depth=1
	s_sleep 1
	global_store_dwordx2 v[6:7], v[4:5], off
	v_mov_b32_e32 v2, s4
	v_mov_b32_e32 v3, s5
	s_waitcnt vmcnt(0)
	global_atomic_cmpswap_x2 v[2:3], v8, v[2:5], s[6:7] offset:24 glc
	s_waitcnt vmcnt(0)
	v_cmp_eq_u64_e32 vcc, v[2:3], v[4:5]
	v_mov_b32_e32 v5, v3
	s_or_b64 s[8:9], vcc, s[8:9]
	v_mov_b32_e32 v4, v2
	s_andn2_b64 exec, exec, s[8:9]
	s_cbranch_execnz .LBB7_810
.LBB7_811:
	s_or_b64 exec, exec, s[10:11]
	s_getpc_b64 s[8:9]
	s_add_u32 s8, s8, .str.28@rel32@lo+4
	s_addc_u32 s9, s9, .str.28@rel32@hi+12
	s_cmp_lg_u64 s[8:9], 0
	s_cbranch_scc0 .LBB7_897
; %bb.812:
	s_waitcnt vmcnt(0)
	v_and_b32_e32 v6, -3, v0
	v_mov_b32_e32 v7, v1
	s_mov_b64 s[10:11], 35
	v_mov_b32_e32 v26, 0
	v_mov_b32_e32 v4, 2
	;; [unrolled: 1-line block ×3, first 2 shown]
	s_branch .LBB7_814
.LBB7_813:                              ;   in Loop: Header=BB7_814 Depth=1
	s_or_b64 exec, exec, s[16:17]
	s_sub_u32 s10, s10, s12
	s_subb_u32 s11, s11, s13
	s_add_u32 s8, s8, s12
	s_addc_u32 s9, s9, s13
	s_cmp_lg_u64 s[10:11], 0
	s_cbranch_scc0 .LBB7_896
.LBB7_814:                              ; =>This Loop Header: Depth=1
                                        ;     Child Loop BB7_817 Depth 2
                                        ;     Child Loop BB7_825 Depth 2
                                        ;     Child Loop BB7_833 Depth 2
                                        ;     Child Loop BB7_841 Depth 2
                                        ;     Child Loop BB7_849 Depth 2
                                        ;     Child Loop BB7_857 Depth 2
                                        ;     Child Loop BB7_865 Depth 2
                                        ;     Child Loop BB7_873 Depth 2
                                        ;     Child Loop BB7_881 Depth 2
                                        ;     Child Loop BB7_890 Depth 2
                                        ;     Child Loop BB7_895 Depth 2
	v_cmp_lt_u64_e64 s[4:5], s[10:11], 56
	v_cmp_gt_u64_e64 s[14:15], s[10:11], 7
	s_and_b64 s[4:5], s[4:5], exec
	s_cselect_b32 s13, s11, 0
	s_cselect_b32 s12, s10, 56
	s_add_u32 s4, s8, 8
	s_addc_u32 s5, s9, 0
	s_and_b64 vcc, exec, s[14:15]
	s_cbranch_vccnz .LBB7_818
; %bb.815:                              ;   in Loop: Header=BB7_814 Depth=1
	s_cmp_eq_u64 s[10:11], 0
	s_cbranch_scc1 .LBB7_819
; %bb.816:                              ;   in Loop: Header=BB7_814 Depth=1
	s_waitcnt vmcnt(0)
	v_mov_b32_e32 v8, 0
	s_lshl_b64 s[4:5], s[12:13], 3
	s_mov_b64 s[14:15], 0
	v_mov_b32_e32 v9, 0
	s_mov_b64 s[16:17], s[8:9]
.LBB7_817:                              ;   Parent Loop BB7_814 Depth=1
                                        ; =>  This Inner Loop Header: Depth=2
	global_load_ubyte v2, v26, s[16:17]
	s_waitcnt vmcnt(0)
	v_and_b32_e32 v25, 0xffff, v2
	v_lshlrev_b64 v[2:3], s14, v[25:26]
	s_add_u32 s14, s14, 8
	s_addc_u32 s15, s15, 0
	s_add_u32 s16, s16, 1
	s_addc_u32 s17, s17, 0
	v_or_b32_e32 v8, v2, v8
	s_cmp_lg_u32 s4, s14
	v_or_b32_e32 v9, v3, v9
	s_cbranch_scc1 .LBB7_817
	s_branch .LBB7_820
.LBB7_818:                              ;   in Loop: Header=BB7_814 Depth=1
	s_mov_b32 s18, 0
	s_branch .LBB7_821
.LBB7_819:                              ;   in Loop: Header=BB7_814 Depth=1
	s_waitcnt vmcnt(0)
	v_mov_b32_e32 v8, 0
	v_mov_b32_e32 v9, 0
.LBB7_820:                              ;   in Loop: Header=BB7_814 Depth=1
	s_mov_b64 s[4:5], s[8:9]
	s_mov_b32 s18, 0
	s_cbranch_execnz .LBB7_822
.LBB7_821:                              ;   in Loop: Header=BB7_814 Depth=1
	global_load_dwordx2 v[8:9], v26, s[8:9]
	s_add_i32 s18, s12, -8
.LBB7_822:                              ;   in Loop: Header=BB7_814 Depth=1
	s_add_u32 s14, s4, 8
	s_addc_u32 s15, s5, 0
	s_cmp_gt_u32 s18, 7
	s_cbranch_scc1 .LBB7_826
; %bb.823:                              ;   in Loop: Header=BB7_814 Depth=1
	s_cmp_eq_u32 s18, 0
	s_cbranch_scc1 .LBB7_827
; %bb.824:                              ;   in Loop: Header=BB7_814 Depth=1
	v_mov_b32_e32 v10, 0
	s_mov_b64 s[14:15], 0
	v_mov_b32_e32 v11, 0
	s_mov_b64 s[16:17], 0
.LBB7_825:                              ;   Parent Loop BB7_814 Depth=1
                                        ; =>  This Inner Loop Header: Depth=2
	s_add_u32 s20, s4, s16
	s_addc_u32 s21, s5, s17
	global_load_ubyte v2, v26, s[20:21]
	s_add_u32 s16, s16, 1
	s_addc_u32 s17, s17, 0
	s_waitcnt vmcnt(0)
	v_and_b32_e32 v25, 0xffff, v2
	v_lshlrev_b64 v[2:3], s14, v[25:26]
	s_add_u32 s14, s14, 8
	s_addc_u32 s15, s15, 0
	v_or_b32_e32 v10, v2, v10
	s_cmp_lg_u32 s18, s16
	v_or_b32_e32 v11, v3, v11
	s_cbranch_scc1 .LBB7_825
	s_branch .LBB7_828
.LBB7_826:                              ;   in Loop: Header=BB7_814 Depth=1
                                        ; implicit-def: $vgpr10_vgpr11
	s_mov_b32 s19, 0
	s_branch .LBB7_829
.LBB7_827:                              ;   in Loop: Header=BB7_814 Depth=1
	v_mov_b32_e32 v10, 0
	v_mov_b32_e32 v11, 0
.LBB7_828:                              ;   in Loop: Header=BB7_814 Depth=1
	s_mov_b64 s[14:15], s[4:5]
	s_mov_b32 s19, 0
	s_cbranch_execnz .LBB7_830
.LBB7_829:                              ;   in Loop: Header=BB7_814 Depth=1
	global_load_dwordx2 v[10:11], v26, s[4:5]
	s_add_i32 s19, s18, -8
.LBB7_830:                              ;   in Loop: Header=BB7_814 Depth=1
	s_add_u32 s4, s14, 8
	s_addc_u32 s5, s15, 0
	s_cmp_gt_u32 s19, 7
	s_cbranch_scc1 .LBB7_834
; %bb.831:                              ;   in Loop: Header=BB7_814 Depth=1
	s_cmp_eq_u32 s19, 0
	s_cbranch_scc1 .LBB7_835
; %bb.832:                              ;   in Loop: Header=BB7_814 Depth=1
	v_mov_b32_e32 v12, 0
	s_mov_b64 s[4:5], 0
	v_mov_b32_e32 v13, 0
	s_mov_b64 s[16:17], 0
.LBB7_833:                              ;   Parent Loop BB7_814 Depth=1
                                        ; =>  This Inner Loop Header: Depth=2
	s_add_u32 s20, s14, s16
	s_addc_u32 s21, s15, s17
	global_load_ubyte v2, v26, s[20:21]
	s_add_u32 s16, s16, 1
	s_addc_u32 s17, s17, 0
	s_waitcnt vmcnt(0)
	v_and_b32_e32 v25, 0xffff, v2
	v_lshlrev_b64 v[2:3], s4, v[25:26]
	s_add_u32 s4, s4, 8
	s_addc_u32 s5, s5, 0
	v_or_b32_e32 v12, v2, v12
	s_cmp_lg_u32 s19, s16
	v_or_b32_e32 v13, v3, v13
	s_cbranch_scc1 .LBB7_833
	s_branch .LBB7_836
.LBB7_834:                              ;   in Loop: Header=BB7_814 Depth=1
	s_mov_b32 s18, 0
	s_branch .LBB7_837
.LBB7_835:                              ;   in Loop: Header=BB7_814 Depth=1
	v_mov_b32_e32 v12, 0
	v_mov_b32_e32 v13, 0
.LBB7_836:                              ;   in Loop: Header=BB7_814 Depth=1
	s_mov_b64 s[4:5], s[14:15]
	s_mov_b32 s18, 0
	s_cbranch_execnz .LBB7_838
.LBB7_837:                              ;   in Loop: Header=BB7_814 Depth=1
	global_load_dwordx2 v[12:13], v26, s[14:15]
	s_add_i32 s18, s19, -8
.LBB7_838:                              ;   in Loop: Header=BB7_814 Depth=1
	s_add_u32 s14, s4, 8
	s_addc_u32 s15, s5, 0
	s_cmp_gt_u32 s18, 7
	s_cbranch_scc1 .LBB7_842
; %bb.839:                              ;   in Loop: Header=BB7_814 Depth=1
	s_cmp_eq_u32 s18, 0
	s_cbranch_scc1 .LBB7_843
; %bb.840:                              ;   in Loop: Header=BB7_814 Depth=1
	v_mov_b32_e32 v14, 0
	s_mov_b64 s[14:15], 0
	v_mov_b32_e32 v15, 0
	s_mov_b64 s[16:17], 0
.LBB7_841:                              ;   Parent Loop BB7_814 Depth=1
                                        ; =>  This Inner Loop Header: Depth=2
	s_add_u32 s20, s4, s16
	s_addc_u32 s21, s5, s17
	global_load_ubyte v2, v26, s[20:21]
	s_add_u32 s16, s16, 1
	s_addc_u32 s17, s17, 0
	s_waitcnt vmcnt(0)
	v_and_b32_e32 v25, 0xffff, v2
	v_lshlrev_b64 v[2:3], s14, v[25:26]
	s_add_u32 s14, s14, 8
	s_addc_u32 s15, s15, 0
	v_or_b32_e32 v14, v2, v14
	s_cmp_lg_u32 s18, s16
	v_or_b32_e32 v15, v3, v15
	s_cbranch_scc1 .LBB7_841
	s_branch .LBB7_844
.LBB7_842:                              ;   in Loop: Header=BB7_814 Depth=1
                                        ; implicit-def: $vgpr14_vgpr15
	s_mov_b32 s19, 0
	s_branch .LBB7_845
.LBB7_843:                              ;   in Loop: Header=BB7_814 Depth=1
	v_mov_b32_e32 v14, 0
	v_mov_b32_e32 v15, 0
.LBB7_844:                              ;   in Loop: Header=BB7_814 Depth=1
	s_mov_b64 s[14:15], s[4:5]
	s_mov_b32 s19, 0
	s_cbranch_execnz .LBB7_846
.LBB7_845:                              ;   in Loop: Header=BB7_814 Depth=1
	global_load_dwordx2 v[14:15], v26, s[4:5]
	s_add_i32 s19, s18, -8
.LBB7_846:                              ;   in Loop: Header=BB7_814 Depth=1
	s_add_u32 s4, s14, 8
	s_addc_u32 s5, s15, 0
	s_cmp_gt_u32 s19, 7
	s_cbranch_scc1 .LBB7_850
; %bb.847:                              ;   in Loop: Header=BB7_814 Depth=1
	s_cmp_eq_u32 s19, 0
	s_cbranch_scc1 .LBB7_851
; %bb.848:                              ;   in Loop: Header=BB7_814 Depth=1
	v_mov_b32_e32 v16, 0
	s_mov_b64 s[4:5], 0
	v_mov_b32_e32 v17, 0
	s_mov_b64 s[16:17], 0
.LBB7_849:                              ;   Parent Loop BB7_814 Depth=1
                                        ; =>  This Inner Loop Header: Depth=2
	s_add_u32 s20, s14, s16
	s_addc_u32 s21, s15, s17
	global_load_ubyte v2, v26, s[20:21]
	s_add_u32 s16, s16, 1
	s_addc_u32 s17, s17, 0
	s_waitcnt vmcnt(0)
	v_and_b32_e32 v25, 0xffff, v2
	v_lshlrev_b64 v[2:3], s4, v[25:26]
	s_add_u32 s4, s4, 8
	s_addc_u32 s5, s5, 0
	v_or_b32_e32 v16, v2, v16
	s_cmp_lg_u32 s19, s16
	v_or_b32_e32 v17, v3, v17
	s_cbranch_scc1 .LBB7_849
	s_branch .LBB7_852
.LBB7_850:                              ;   in Loop: Header=BB7_814 Depth=1
	s_mov_b32 s18, 0
	s_branch .LBB7_853
.LBB7_851:                              ;   in Loop: Header=BB7_814 Depth=1
	v_mov_b32_e32 v16, 0
	v_mov_b32_e32 v17, 0
.LBB7_852:                              ;   in Loop: Header=BB7_814 Depth=1
	s_mov_b64 s[4:5], s[14:15]
	s_mov_b32 s18, 0
	s_cbranch_execnz .LBB7_854
.LBB7_853:                              ;   in Loop: Header=BB7_814 Depth=1
	global_load_dwordx2 v[16:17], v26, s[14:15]
	s_add_i32 s18, s19, -8
.LBB7_854:                              ;   in Loop: Header=BB7_814 Depth=1
	s_add_u32 s14, s4, 8
	s_addc_u32 s15, s5, 0
	s_cmp_gt_u32 s18, 7
	s_cbranch_scc1 .LBB7_858
; %bb.855:                              ;   in Loop: Header=BB7_814 Depth=1
	s_cmp_eq_u32 s18, 0
	s_cbranch_scc1 .LBB7_859
; %bb.856:                              ;   in Loop: Header=BB7_814 Depth=1
	v_mov_b32_e32 v18, 0
	s_mov_b64 s[14:15], 0
	v_mov_b32_e32 v19, 0
	s_mov_b64 s[16:17], 0
.LBB7_857:                              ;   Parent Loop BB7_814 Depth=1
                                        ; =>  This Inner Loop Header: Depth=2
	s_add_u32 s20, s4, s16
	s_addc_u32 s21, s5, s17
	global_load_ubyte v2, v26, s[20:21]
	s_add_u32 s16, s16, 1
	s_addc_u32 s17, s17, 0
	s_waitcnt vmcnt(0)
	v_and_b32_e32 v25, 0xffff, v2
	v_lshlrev_b64 v[2:3], s14, v[25:26]
	s_add_u32 s14, s14, 8
	s_addc_u32 s15, s15, 0
	v_or_b32_e32 v18, v2, v18
	s_cmp_lg_u32 s18, s16
	v_or_b32_e32 v19, v3, v19
	s_cbranch_scc1 .LBB7_857
	s_branch .LBB7_860
.LBB7_858:                              ;   in Loop: Header=BB7_814 Depth=1
                                        ; implicit-def: $vgpr18_vgpr19
	s_mov_b32 s19, 0
	s_branch .LBB7_861
.LBB7_859:                              ;   in Loop: Header=BB7_814 Depth=1
	v_mov_b32_e32 v18, 0
	v_mov_b32_e32 v19, 0
.LBB7_860:                              ;   in Loop: Header=BB7_814 Depth=1
	s_mov_b64 s[14:15], s[4:5]
	s_mov_b32 s19, 0
	s_cbranch_execnz .LBB7_862
.LBB7_861:                              ;   in Loop: Header=BB7_814 Depth=1
	global_load_dwordx2 v[18:19], v26, s[4:5]
	s_add_i32 s19, s18, -8
.LBB7_862:                              ;   in Loop: Header=BB7_814 Depth=1
	s_cmp_gt_u32 s19, 7
	s_cbranch_scc1 .LBB7_866
; %bb.863:                              ;   in Loop: Header=BB7_814 Depth=1
	s_cmp_eq_u32 s19, 0
	s_cbranch_scc1 .LBB7_867
; %bb.864:                              ;   in Loop: Header=BB7_814 Depth=1
	v_mov_b32_e32 v20, 0
	s_mov_b64 s[4:5], 0
	v_mov_b32_e32 v21, 0
	s_mov_b64 s[16:17], s[14:15]
.LBB7_865:                              ;   Parent Loop BB7_814 Depth=1
                                        ; =>  This Inner Loop Header: Depth=2
	global_load_ubyte v2, v26, s[16:17]
	s_add_i32 s19, s19, -1
	s_waitcnt vmcnt(0)
	v_and_b32_e32 v25, 0xffff, v2
	v_lshlrev_b64 v[2:3], s4, v[25:26]
	s_add_u32 s4, s4, 8
	s_addc_u32 s5, s5, 0
	s_add_u32 s16, s16, 1
	s_addc_u32 s17, s17, 0
	v_or_b32_e32 v20, v2, v20
	s_cmp_lg_u32 s19, 0
	v_or_b32_e32 v21, v3, v21
	s_cbranch_scc1 .LBB7_865
	s_branch .LBB7_868
.LBB7_866:                              ;   in Loop: Header=BB7_814 Depth=1
	s_branch .LBB7_869
.LBB7_867:                              ;   in Loop: Header=BB7_814 Depth=1
	v_mov_b32_e32 v20, 0
	v_mov_b32_e32 v21, 0
.LBB7_868:                              ;   in Loop: Header=BB7_814 Depth=1
	s_cbranch_execnz .LBB7_870
.LBB7_869:                              ;   in Loop: Header=BB7_814 Depth=1
	global_load_dwordx2 v[20:21], v26, s[14:15]
.LBB7_870:                              ;   in Loop: Header=BB7_814 Depth=1
	v_readfirstlane_b32 s4, v30
	v_mov_b32_e32 v2, 0
	v_mov_b32_e32 v3, 0
	v_cmp_eq_u32_e64 s[4:5], s4, v30
	s_and_saveexec_b64 s[14:15], s[4:5]
	s_cbranch_execz .LBB7_876
; %bb.871:                              ;   in Loop: Header=BB7_814 Depth=1
	global_load_dwordx2 v[24:25], v26, s[6:7] offset:24 glc
	s_waitcnt vmcnt(0)
	buffer_wbinvl1_vol
	global_load_dwordx2 v[2:3], v26, s[6:7] offset:40
	global_load_dwordx2 v[22:23], v26, s[6:7]
	s_waitcnt vmcnt(1)
	v_and_b32_e32 v2, v2, v24
	v_and_b32_e32 v3, v3, v25
	v_mul_lo_u32 v3, v3, 24
	v_mul_hi_u32 v27, v2, 24
	v_mul_lo_u32 v2, v2, 24
	v_add_u32_e32 v3, v27, v3
	s_waitcnt vmcnt(0)
	v_add_co_u32_e32 v2, vcc, v22, v2
	v_addc_co_u32_e32 v3, vcc, v23, v3, vcc
	global_load_dwordx2 v[22:23], v[2:3], off glc
	s_waitcnt vmcnt(0)
	global_atomic_cmpswap_x2 v[2:3], v26, v[22:25], s[6:7] offset:24 glc
	s_waitcnt vmcnt(0)
	buffer_wbinvl1_vol
	v_cmp_ne_u64_e32 vcc, v[2:3], v[24:25]
	s_and_saveexec_b64 s[16:17], vcc
	s_cbranch_execz .LBB7_875
; %bb.872:                              ;   in Loop: Header=BB7_814 Depth=1
	s_mov_b64 s[18:19], 0
.LBB7_873:                              ;   Parent Loop BB7_814 Depth=1
                                        ; =>  This Inner Loop Header: Depth=2
	s_sleep 1
	global_load_dwordx2 v[22:23], v26, s[6:7] offset:40
	global_load_dwordx2 v[27:28], v26, s[6:7]
	v_mov_b32_e32 v25, v3
	v_mov_b32_e32 v24, v2
	s_waitcnt vmcnt(1)
	v_and_b32_e32 v2, v22, v24
	s_waitcnt vmcnt(0)
	v_mad_u64_u32 v[2:3], s[20:21], v2, 24, v[27:28]
	v_and_b32_e32 v22, v23, v25
	v_mad_u64_u32 v[22:23], s[20:21], v22, 24, v[3:4]
	v_mov_b32_e32 v3, v22
	global_load_dwordx2 v[22:23], v[2:3], off glc
	s_waitcnt vmcnt(0)
	global_atomic_cmpswap_x2 v[2:3], v26, v[22:25], s[6:7] offset:24 glc
	s_waitcnt vmcnt(0)
	buffer_wbinvl1_vol
	v_cmp_eq_u64_e32 vcc, v[2:3], v[24:25]
	s_or_b64 s[18:19], vcc, s[18:19]
	s_andn2_b64 exec, exec, s[18:19]
	s_cbranch_execnz .LBB7_873
; %bb.874:                              ;   in Loop: Header=BB7_814 Depth=1
	s_or_b64 exec, exec, s[18:19]
.LBB7_875:                              ;   in Loop: Header=BB7_814 Depth=1
	s_or_b64 exec, exec, s[16:17]
.LBB7_876:                              ;   in Loop: Header=BB7_814 Depth=1
	s_or_b64 exec, exec, s[14:15]
	global_load_dwordx2 v[27:28], v26, s[6:7] offset:40
	global_load_dwordx4 v[22:25], v26, s[6:7]
	v_readfirstlane_b32 s15, v3
	v_readfirstlane_b32 s14, v2
	s_mov_b64 s[16:17], exec
	s_waitcnt vmcnt(1)
	v_readfirstlane_b32 s18, v27
	v_readfirstlane_b32 s19, v28
	s_and_b64 s[18:19], s[18:19], s[14:15]
	s_mul_i32 s20, s19, 24
	s_mul_hi_u32 s21, s18, 24
	s_mul_i32 s22, s18, 24
	s_add_i32 s20, s21, s20
	v_mov_b32_e32 v2, s20
	s_waitcnt vmcnt(0)
	v_add_co_u32_e32 v27, vcc, s22, v22
	v_addc_co_u32_e32 v28, vcc, v23, v2, vcc
	s_and_saveexec_b64 s[20:21], s[4:5]
	s_cbranch_execz .LBB7_878
; %bb.877:                              ;   in Loop: Header=BB7_814 Depth=1
	v_mov_b32_e32 v2, s16
	v_mov_b32_e32 v3, s17
	global_store_dwordx4 v[27:28], v[2:5], off offset:8
.LBB7_878:                              ;   in Loop: Header=BB7_814 Depth=1
	s_or_b64 exec, exec, s[20:21]
	s_lshl_b64 s[16:17], s[18:19], 12
	v_cmp_gt_u64_e64 s[18:19], s[10:11], 56
	v_mov_b32_e32 v2, s17
	v_add_co_u32_e32 v24, vcc, s16, v24
	s_and_b64 s[16:17], s[18:19], exec
	s_cselect_b32 s16, 0, 2
	s_lshl_b32 s17, s12, 2
	v_addc_co_u32_e32 v31, vcc, v25, v2, vcc
	s_add_i32 s17, s17, 28
	v_and_b32_e32 v2, 0xffffff1f, v6
	s_and_b32 s17, s17, 0x1e0
	v_or_b32_e32 v2, s16, v2
	v_or_b32_e32 v6, s17, v2
	v_readfirstlane_b32 s16, v24
	v_readfirstlane_b32 s17, v31
	s_nop 4
	global_store_dwordx4 v29, v[6:9], s[16:17]
	global_store_dwordx4 v29, v[10:13], s[16:17] offset:16
	global_store_dwordx4 v29, v[14:17], s[16:17] offset:32
	;; [unrolled: 1-line block ×3, first 2 shown]
	s_and_saveexec_b64 s[16:17], s[4:5]
	s_cbranch_execz .LBB7_886
; %bb.879:                              ;   in Loop: Header=BB7_814 Depth=1
	global_load_dwordx2 v[10:11], v26, s[6:7] offset:32 glc
	global_load_dwordx2 v[2:3], v26, s[6:7] offset:40
	v_mov_b32_e32 v8, s14
	v_mov_b32_e32 v9, s15
	s_waitcnt vmcnt(0)
	v_readfirstlane_b32 s18, v2
	v_readfirstlane_b32 s19, v3
	s_and_b64 s[18:19], s[18:19], s[14:15]
	s_mul_i32 s19, s19, 24
	s_mul_hi_u32 s20, s18, 24
	s_mul_i32 s18, s18, 24
	s_add_i32 s19, s20, s19
	v_mov_b32_e32 v3, s19
	v_add_co_u32_e32 v2, vcc, s18, v22
	v_addc_co_u32_e32 v3, vcc, v23, v3, vcc
	global_store_dwordx2 v[2:3], v[10:11], off
	s_waitcnt vmcnt(0)
	global_atomic_cmpswap_x2 v[8:9], v26, v[8:11], s[6:7] offset:32 glc
	s_waitcnt vmcnt(0)
	v_cmp_ne_u64_e32 vcc, v[8:9], v[10:11]
	s_and_saveexec_b64 s[18:19], vcc
	s_cbranch_execz .LBB7_882
; %bb.880:                              ;   in Loop: Header=BB7_814 Depth=1
	s_mov_b64 s[20:21], 0
.LBB7_881:                              ;   Parent Loop BB7_814 Depth=1
                                        ; =>  This Inner Loop Header: Depth=2
	s_sleep 1
	global_store_dwordx2 v[2:3], v[8:9], off
	v_mov_b32_e32 v6, s14
	v_mov_b32_e32 v7, s15
	s_waitcnt vmcnt(0)
	global_atomic_cmpswap_x2 v[6:7], v26, v[6:9], s[6:7] offset:32 glc
	s_waitcnt vmcnt(0)
	v_cmp_eq_u64_e32 vcc, v[6:7], v[8:9]
	v_mov_b32_e32 v9, v7
	s_or_b64 s[20:21], vcc, s[20:21]
	v_mov_b32_e32 v8, v6
	s_andn2_b64 exec, exec, s[20:21]
	s_cbranch_execnz .LBB7_881
.LBB7_882:                              ;   in Loop: Header=BB7_814 Depth=1
	s_or_b64 exec, exec, s[18:19]
	global_load_dwordx2 v[2:3], v26, s[6:7] offset:16
	s_mov_b64 s[20:21], exec
	v_mbcnt_lo_u32_b32 v6, s20, 0
	v_mbcnt_hi_u32_b32 v6, s21, v6
	v_cmp_eq_u32_e32 vcc, 0, v6
	s_and_saveexec_b64 s[18:19], vcc
	s_cbranch_execz .LBB7_884
; %bb.883:                              ;   in Loop: Header=BB7_814 Depth=1
	s_bcnt1_i32_b64 s20, s[20:21]
	v_mov_b32_e32 v25, s20
	s_waitcnt vmcnt(0)
	global_atomic_add_x2 v[2:3], v[25:26], off offset:8
.LBB7_884:                              ;   in Loop: Header=BB7_814 Depth=1
	s_or_b64 exec, exec, s[18:19]
	s_waitcnt vmcnt(0)
	global_load_dwordx2 v[6:7], v[2:3], off offset:16
	s_waitcnt vmcnt(0)
	v_cmp_eq_u64_e32 vcc, 0, v[6:7]
	s_cbranch_vccnz .LBB7_886
; %bb.885:                              ;   in Loop: Header=BB7_814 Depth=1
	global_load_dword v25, v[2:3], off offset:24
	s_waitcnt vmcnt(0)
	v_readfirstlane_b32 s18, v25
	s_and_b32 m0, s18, 0xffffff
	global_store_dwordx2 v[6:7], v[25:26], off
	s_sendmsg sendmsg(MSG_INTERRUPT)
.LBB7_886:                              ;   in Loop: Header=BB7_814 Depth=1
	s_or_b64 exec, exec, s[16:17]
	v_add_co_u32_e32 v2, vcc, v24, v29
	v_addc_co_u32_e32 v3, vcc, 0, v31, vcc
	s_branch .LBB7_890
.LBB7_887:                              ;   in Loop: Header=BB7_890 Depth=2
	s_or_b64 exec, exec, s[16:17]
	v_readfirstlane_b32 s16, v6
	s_cmp_eq_u32 s16, 0
	s_cbranch_scc1 .LBB7_889
; %bb.888:                              ;   in Loop: Header=BB7_890 Depth=2
	s_sleep 1
	s_cbranch_execnz .LBB7_890
	s_branch .LBB7_892
.LBB7_889:                              ;   in Loop: Header=BB7_814 Depth=1
	s_branch .LBB7_892
.LBB7_890:                              ;   Parent Loop BB7_814 Depth=1
                                        ; =>  This Inner Loop Header: Depth=2
	v_mov_b32_e32 v6, 1
	s_and_saveexec_b64 s[16:17], s[4:5]
	s_cbranch_execz .LBB7_887
; %bb.891:                              ;   in Loop: Header=BB7_890 Depth=2
	global_load_dword v6, v[27:28], off offset:20 glc
	s_waitcnt vmcnt(0)
	buffer_wbinvl1_vol
	v_and_b32_e32 v6, 1, v6
	s_branch .LBB7_887
.LBB7_892:                              ;   in Loop: Header=BB7_814 Depth=1
	global_load_dwordx4 v[6:9], v[2:3], off
	s_and_saveexec_b64 s[16:17], s[4:5]
	s_cbranch_execz .LBB7_813
; %bb.893:                              ;   in Loop: Header=BB7_814 Depth=1
	global_load_dwordx2 v[2:3], v26, s[6:7] offset:40
	global_load_dwordx2 v[12:13], v26, s[6:7] offset:24 glc
	global_load_dwordx2 v[8:9], v26, s[6:7]
	s_waitcnt vmcnt(2)
	v_readfirstlane_b32 s18, v2
	v_readfirstlane_b32 s19, v3
	s_add_u32 s20, s18, 1
	s_addc_u32 s21, s19, 0
	s_add_u32 s4, s20, s14
	s_addc_u32 s5, s21, s15
	s_cmp_eq_u64 s[4:5], 0
	s_cselect_b32 s5, s21, s5
	s_cselect_b32 s4, s20, s4
	s_and_b64 s[14:15], s[4:5], s[18:19]
	s_mul_i32 s15, s15, 24
	s_mul_hi_u32 s18, s14, 24
	s_mul_i32 s14, s14, 24
	s_add_i32 s15, s18, s15
	v_mov_b32_e32 v3, s15
	s_waitcnt vmcnt(0)
	v_add_co_u32_e32 v2, vcc, s14, v8
	v_addc_co_u32_e32 v3, vcc, v9, v3, vcc
	v_mov_b32_e32 v10, s4
	global_store_dwordx2 v[2:3], v[12:13], off
	v_mov_b32_e32 v11, s5
	s_waitcnt vmcnt(0)
	global_atomic_cmpswap_x2 v[10:11], v26, v[10:13], s[6:7] offset:24 glc
	s_waitcnt vmcnt(0)
	v_cmp_ne_u64_e32 vcc, v[10:11], v[12:13]
	s_and_b64 exec, exec, vcc
	s_cbranch_execz .LBB7_813
; %bb.894:                              ;   in Loop: Header=BB7_814 Depth=1
	s_mov_b64 s[14:15], 0
.LBB7_895:                              ;   Parent Loop BB7_814 Depth=1
                                        ; =>  This Inner Loop Header: Depth=2
	s_sleep 1
	global_store_dwordx2 v[2:3], v[10:11], off
	v_mov_b32_e32 v8, s4
	v_mov_b32_e32 v9, s5
	s_waitcnt vmcnt(0)
	global_atomic_cmpswap_x2 v[8:9], v26, v[8:11], s[6:7] offset:24 glc
	s_waitcnt vmcnt(0)
	v_cmp_eq_u64_e32 vcc, v[8:9], v[10:11]
	v_mov_b32_e32 v11, v9
	s_or_b64 s[14:15], vcc, s[14:15]
	v_mov_b32_e32 v10, v8
	s_andn2_b64 exec, exec, s[14:15]
	s_cbranch_execnz .LBB7_895
	s_branch .LBB7_813
.LBB7_896:
	s_branch .LBB7_924
.LBB7_897:
	s_cbranch_execz .LBB7_924
; %bb.898:
	v_readfirstlane_b32 s4, v30
	s_waitcnt vmcnt(0)
	v_mov_b32_e32 v8, 0
	v_mov_b32_e32 v9, 0
	v_cmp_eq_u32_e64 s[4:5], s4, v30
	s_and_saveexec_b64 s[8:9], s[4:5]
	s_cbranch_execz .LBB7_904
; %bb.899:
	v_mov_b32_e32 v2, 0
	global_load_dwordx2 v[5:6], v2, s[6:7] offset:24 glc
	s_waitcnt vmcnt(0)
	buffer_wbinvl1_vol
	global_load_dwordx2 v[3:4], v2, s[6:7] offset:40
	global_load_dwordx2 v[7:8], v2, s[6:7]
	s_waitcnt vmcnt(1)
	v_and_b32_e32 v3, v3, v5
	v_and_b32_e32 v4, v4, v6
	v_mul_lo_u32 v4, v4, 24
	v_mul_hi_u32 v9, v3, 24
	v_mul_lo_u32 v3, v3, 24
	v_add_u32_e32 v4, v9, v4
	s_waitcnt vmcnt(0)
	v_add_co_u32_e32 v3, vcc, v7, v3
	v_addc_co_u32_e32 v4, vcc, v8, v4, vcc
	global_load_dwordx2 v[3:4], v[3:4], off glc
	s_waitcnt vmcnt(0)
	global_atomic_cmpswap_x2 v[8:9], v2, v[3:6], s[6:7] offset:24 glc
	s_waitcnt vmcnt(0)
	buffer_wbinvl1_vol
	v_cmp_ne_u64_e32 vcc, v[8:9], v[5:6]
	s_and_saveexec_b64 s[10:11], vcc
	s_cbranch_execz .LBB7_903
; %bb.900:
	s_mov_b64 s[12:13], 0
.LBB7_901:                              ; =>This Inner Loop Header: Depth=1
	s_sleep 1
	global_load_dwordx2 v[3:4], v2, s[6:7] offset:40
	global_load_dwordx2 v[10:11], v2, s[6:7]
	v_mov_b32_e32 v5, v8
	v_mov_b32_e32 v6, v9
	s_waitcnt vmcnt(1)
	v_and_b32_e32 v3, v3, v5
	s_waitcnt vmcnt(0)
	v_mad_u64_u32 v[7:8], s[14:15], v3, 24, v[10:11]
	v_and_b32_e32 v4, v4, v6
	v_mov_b32_e32 v3, v8
	v_mad_u64_u32 v[3:4], s[14:15], v4, 24, v[3:4]
	v_mov_b32_e32 v8, v3
	global_load_dwordx2 v[3:4], v[7:8], off glc
	s_waitcnt vmcnt(0)
	global_atomic_cmpswap_x2 v[8:9], v2, v[3:6], s[6:7] offset:24 glc
	s_waitcnt vmcnt(0)
	buffer_wbinvl1_vol
	v_cmp_eq_u64_e32 vcc, v[8:9], v[5:6]
	s_or_b64 s[12:13], vcc, s[12:13]
	s_andn2_b64 exec, exec, s[12:13]
	s_cbranch_execnz .LBB7_901
; %bb.902:
	s_or_b64 exec, exec, s[12:13]
.LBB7_903:
	s_or_b64 exec, exec, s[10:11]
.LBB7_904:
	s_or_b64 exec, exec, s[8:9]
	v_mov_b32_e32 v2, 0
	global_load_dwordx2 v[10:11], v2, s[6:7] offset:40
	global_load_dwordx4 v[4:7], v2, s[6:7]
	v_readfirstlane_b32 s9, v9
	v_readfirstlane_b32 s8, v8
	s_mov_b64 s[10:11], exec
	s_waitcnt vmcnt(1)
	v_readfirstlane_b32 s12, v10
	v_readfirstlane_b32 s13, v11
	s_and_b64 s[12:13], s[12:13], s[8:9]
	s_mul_i32 s14, s13, 24
	s_mul_hi_u32 s15, s12, 24
	s_mul_i32 s16, s12, 24
	s_add_i32 s14, s15, s14
	v_mov_b32_e32 v3, s14
	s_waitcnt vmcnt(0)
	v_add_co_u32_e32 v8, vcc, s16, v4
	v_addc_co_u32_e32 v9, vcc, v5, v3, vcc
	s_and_saveexec_b64 s[14:15], s[4:5]
	s_cbranch_execz .LBB7_906
; %bb.905:
	v_mov_b32_e32 v10, s10
	v_mov_b32_e32 v11, s11
	;; [unrolled: 1-line block ×4, first 2 shown]
	global_store_dwordx4 v[8:9], v[10:13], off offset:8
.LBB7_906:
	s_or_b64 exec, exec, s[14:15]
	s_lshl_b64 s[10:11], s[12:13], 12
	v_mov_b32_e32 v3, s11
	v_add_co_u32_e32 v6, vcc, s10, v6
	v_addc_co_u32_e32 v7, vcc, v7, v3, vcc
	s_movk_i32 s10, 0xff1d
	v_and_or_b32 v0, v0, s10, 34
	s_mov_b32 s12, 0
	v_mov_b32_e32 v3, v2
	v_readfirstlane_b32 s10, v6
	v_readfirstlane_b32 s11, v7
	s_mov_b32 s13, s12
	s_mov_b32 s14, s12
	;; [unrolled: 1-line block ×3, first 2 shown]
	s_nop 1
	global_store_dwordx4 v29, v[0:3], s[10:11]
	s_nop 0
	v_mov_b32_e32 v0, s12
	v_mov_b32_e32 v1, s13
	;; [unrolled: 1-line block ×4, first 2 shown]
	global_store_dwordx4 v29, v[0:3], s[10:11] offset:16
	global_store_dwordx4 v29, v[0:3], s[10:11] offset:32
	;; [unrolled: 1-line block ×3, first 2 shown]
	s_and_saveexec_b64 s[10:11], s[4:5]
	s_cbranch_execz .LBB7_914
; %bb.907:
	v_mov_b32_e32 v6, 0
	global_load_dwordx2 v[12:13], v6, s[6:7] offset:32 glc
	global_load_dwordx2 v[0:1], v6, s[6:7] offset:40
	v_mov_b32_e32 v10, s8
	v_mov_b32_e32 v11, s9
	s_waitcnt vmcnt(0)
	v_readfirstlane_b32 s12, v0
	v_readfirstlane_b32 s13, v1
	s_and_b64 s[12:13], s[12:13], s[8:9]
	s_mul_i32 s13, s13, 24
	s_mul_hi_u32 s14, s12, 24
	s_mul_i32 s12, s12, 24
	s_add_i32 s13, s14, s13
	v_mov_b32_e32 v0, s13
	v_add_co_u32_e32 v4, vcc, s12, v4
	v_addc_co_u32_e32 v5, vcc, v5, v0, vcc
	global_store_dwordx2 v[4:5], v[12:13], off
	s_waitcnt vmcnt(0)
	global_atomic_cmpswap_x2 v[2:3], v6, v[10:13], s[6:7] offset:32 glc
	s_waitcnt vmcnt(0)
	v_cmp_ne_u64_e32 vcc, v[2:3], v[12:13]
	s_and_saveexec_b64 s[12:13], vcc
	s_cbranch_execz .LBB7_910
; %bb.908:
	s_mov_b64 s[14:15], 0
.LBB7_909:                              ; =>This Inner Loop Header: Depth=1
	s_sleep 1
	global_store_dwordx2 v[4:5], v[2:3], off
	v_mov_b32_e32 v0, s8
	v_mov_b32_e32 v1, s9
	s_waitcnt vmcnt(0)
	global_atomic_cmpswap_x2 v[0:1], v6, v[0:3], s[6:7] offset:32 glc
	s_waitcnt vmcnt(0)
	v_cmp_eq_u64_e32 vcc, v[0:1], v[2:3]
	v_mov_b32_e32 v3, v1
	s_or_b64 s[14:15], vcc, s[14:15]
	v_mov_b32_e32 v2, v0
	s_andn2_b64 exec, exec, s[14:15]
	s_cbranch_execnz .LBB7_909
.LBB7_910:
	s_or_b64 exec, exec, s[12:13]
	v_mov_b32_e32 v3, 0
	global_load_dwordx2 v[0:1], v3, s[6:7] offset:16
	s_mov_b64 s[12:13], exec
	v_mbcnt_lo_u32_b32 v2, s12, 0
	v_mbcnt_hi_u32_b32 v2, s13, v2
	v_cmp_eq_u32_e32 vcc, 0, v2
	s_and_saveexec_b64 s[14:15], vcc
	s_cbranch_execz .LBB7_912
; %bb.911:
	s_bcnt1_i32_b64 s12, s[12:13]
	v_mov_b32_e32 v2, s12
	s_waitcnt vmcnt(0)
	global_atomic_add_x2 v[0:1], v[2:3], off offset:8
.LBB7_912:
	s_or_b64 exec, exec, s[14:15]
	s_waitcnt vmcnt(0)
	global_load_dwordx2 v[2:3], v[0:1], off offset:16
	s_waitcnt vmcnt(0)
	v_cmp_eq_u64_e32 vcc, 0, v[2:3]
	s_cbranch_vccnz .LBB7_914
; %bb.913:
	global_load_dword v0, v[0:1], off offset:24
	v_mov_b32_e32 v1, 0
	s_waitcnt vmcnt(0)
	v_readfirstlane_b32 s12, v0
	s_and_b32 m0, s12, 0xffffff
	global_store_dwordx2 v[2:3], v[0:1], off
	s_sendmsg sendmsg(MSG_INTERRUPT)
.LBB7_914:
	s_or_b64 exec, exec, s[10:11]
	s_branch .LBB7_918
.LBB7_915:                              ;   in Loop: Header=BB7_918 Depth=1
	s_or_b64 exec, exec, s[10:11]
	v_readfirstlane_b32 s10, v0
	s_cmp_eq_u32 s10, 0
	s_cbranch_scc1 .LBB7_917
; %bb.916:                              ;   in Loop: Header=BB7_918 Depth=1
	s_sleep 1
	s_cbranch_execnz .LBB7_918
	s_branch .LBB7_920
.LBB7_917:
	s_branch .LBB7_920
.LBB7_918:                              ; =>This Inner Loop Header: Depth=1
	v_mov_b32_e32 v0, 1
	s_and_saveexec_b64 s[10:11], s[4:5]
	s_cbranch_execz .LBB7_915
; %bb.919:                              ;   in Loop: Header=BB7_918 Depth=1
	global_load_dword v0, v[8:9], off offset:20 glc
	s_waitcnt vmcnt(0)
	buffer_wbinvl1_vol
	v_and_b32_e32 v0, 1, v0
	s_branch .LBB7_915
.LBB7_920:
	s_and_saveexec_b64 s[10:11], s[4:5]
	s_cbranch_execz .LBB7_923
; %bb.921:
	v_mov_b32_e32 v6, 0
	global_load_dwordx2 v[0:1], v6, s[6:7] offset:40
	global_load_dwordx2 v[9:10], v6, s[6:7] offset:24 glc
	global_load_dwordx2 v[2:3], v6, s[6:7]
	s_waitcnt vmcnt(2)
	v_readfirstlane_b32 s12, v0
	v_readfirstlane_b32 s13, v1
	s_add_u32 s14, s12, 1
	s_addc_u32 s15, s13, 0
	s_add_u32 s4, s14, s8
	s_addc_u32 s5, s15, s9
	s_cmp_eq_u64 s[4:5], 0
	s_cselect_b32 s5, s15, s5
	s_cselect_b32 s4, s14, s4
	s_and_b64 s[8:9], s[4:5], s[12:13]
	s_mul_i32 s9, s9, 24
	s_mul_hi_u32 s12, s8, 24
	s_mul_i32 s8, s8, 24
	s_add_i32 s9, s12, s9
	v_mov_b32_e32 v0, s9
	s_waitcnt vmcnt(0)
	v_add_co_u32_e32 v4, vcc, s8, v2
	v_addc_co_u32_e32 v5, vcc, v3, v0, vcc
	v_mov_b32_e32 v7, s4
	global_store_dwordx2 v[4:5], v[9:10], off
	v_mov_b32_e32 v8, s5
	s_waitcnt vmcnt(0)
	global_atomic_cmpswap_x2 v[2:3], v6, v[7:10], s[6:7] offset:24 glc
	s_mov_b64 s[8:9], 0
	s_waitcnt vmcnt(0)
	v_cmp_ne_u64_e32 vcc, v[2:3], v[9:10]
	s_and_b64 exec, exec, vcc
	s_cbranch_execz .LBB7_923
.LBB7_922:                              ; =>This Inner Loop Header: Depth=1
	s_sleep 1
	global_store_dwordx2 v[4:5], v[2:3], off
	v_mov_b32_e32 v0, s4
	v_mov_b32_e32 v1, s5
	s_waitcnt vmcnt(0)
	global_atomic_cmpswap_x2 v[0:1], v6, v[0:3], s[6:7] offset:24 glc
	s_waitcnt vmcnt(0)
	v_cmp_eq_u64_e32 vcc, v[0:1], v[2:3]
	v_mov_b32_e32 v3, v1
	s_or_b64 s[8:9], vcc, s[8:9]
	v_mov_b32_e32 v2, v0
	s_andn2_b64 exec, exec, s[8:9]
	s_cbranch_execnz .LBB7_922
.LBB7_923:
	s_or_b64 exec, exec, s[10:11]
.LBB7_924:
	s_add_u32 s8, s88, 0x80
	s_addc_u32 s9, s89, 0
	s_getpc_b64 s[4:5]
	s_add_u32 s4, s4, .str.29@rel32@lo+4
	s_addc_u32 s5, s5, .str.29@rel32@hi+12
	s_getpc_b64 s[6:7]
	s_add_u32 s6, s6, .str.19@rel32@lo+4
	s_addc_u32 s7, s7, .str.19@rel32@hi+12
	s_getpc_b64 s[10:11]
	s_add_u32 s10, s10, __PRETTY_FUNCTION__._ZN7VecsMemIjLi8192EE5fetchEi@rel32@lo+4
	s_addc_u32 s11, s11, __PRETTY_FUNCTION__._ZN7VecsMemIjLi8192EE5fetchEi@rel32@hi+12
	s_getpc_b64 s[12:13]
	s_add_u32 s12, s12, __assert_fail@rel32@lo+4
	s_addc_u32 s13, s13, __assert_fail@rel32@hi+12
	s_waitcnt vmcnt(0)
	v_mov_b32_e32 v0, s4
	v_mov_b32_e32 v1, s5
	;; [unrolled: 1-line block ×7, first 2 shown]
	s_swappc_b64 s[30:31], s[12:13]
	s_or_b64 s[26:27], s[26:27], exec
	s_or_b64 exec, exec, s[38:39]
	s_and_saveexec_b64 s[4:5], s[34:35]
	s_xor_b64 s[34:35], exec, s[4:5]
	s_cbranch_execz .LBB7_350
.LBB7_925:
	s_add_u32 s8, s88, 0x80
	s_addc_u32 s9, s89, 0
	s_getpc_b64 s[4:5]
	s_add_u32 s4, s4, .str.18@rel32@lo+4
	s_addc_u32 s5, s5, .str.18@rel32@hi+12
	s_getpc_b64 s[6:7]
	s_add_u32 s6, s6, .str.19@rel32@lo+4
	s_addc_u32 s7, s7, .str.19@rel32@hi+12
	s_getpc_b64 s[10:11]
	s_add_u32 s10, s10, __PRETTY_FUNCTION__._ZN7VecsMemIjLi8192EE6shrinkEi@rel32@lo+4
	s_addc_u32 s11, s11, __PRETTY_FUNCTION__._ZN7VecsMemIjLi8192EE6shrinkEi@rel32@hi+12
	s_getpc_b64 s[12:13]
	s_add_u32 s12, s12, __assert_fail@rel32@lo+4
	s_addc_u32 s13, s13, __assert_fail@rel32@hi+12
	v_mov_b32_e32 v0, s4
	v_mov_b32_e32 v1, s5
	s_waitcnt vmcnt(0)
	v_mov_b32_e32 v2, s6
	v_mov_b32_e32 v3, s7
	v_mov_b32_e32 v4, 20
	v_mov_b32_e32 v5, s10
	v_mov_b32_e32 v6, s11
	s_swappc_b64 s[30:31], s[12:13]
	s_or_b64 s[26:27], s[26:27], exec
	s_or_b64 exec, exec, s[34:35]
	s_and_saveexec_b64 s[34:35], s[28:29]
	s_cbranch_execz .LBB7_351
.LBB7_926:
	s_add_u32 s8, s88, 0x80
	s_addc_u32 s9, s89, 0
	s_getpc_b64 s[4:5]
	s_add_u32 s4, s4, .str.7@rel32@lo+4
	s_addc_u32 s5, s5, .str.7@rel32@hi+12
	s_getpc_b64 s[6:7]
	s_add_u32 s6, s6, .str.1@rel32@lo+4
	s_addc_u32 s7, s7, .str.1@rel32@hi+12
	s_getpc_b64 s[10:11]
	s_add_u32 s10, s10, __PRETTY_FUNCTION__._Z8resynCutPKiS0_S0_S0_PKyPKjiS0_PyPiS6_S6_PjS0_S4_ii@rel32@lo+4
	s_addc_u32 s11, s11, __PRETTY_FUNCTION__._Z8resynCutPKiS0_S0_S0_PKyPKjiS0_PyPiS6_S6_PjS0_S4_ii@rel32@hi+12
	s_getpc_b64 s[12:13]
	s_add_u32 s12, s12, __assert_fail@rel32@lo+4
	s_addc_u32 s13, s13, __assert_fail@rel32@hi+12
	v_mov_b32_e32 v0, s4
	v_mov_b32_e32 v1, s5
	s_waitcnt vmcnt(0)
	v_mov_b32_e32 v2, s6
	v_mov_b32_e32 v3, s7
	;; [unrolled: 1-line block ×5, first 2 shown]
	s_swappc_b64 s[30:31], s[12:13]
	s_or_b64 s[26:27], s[26:27], exec
	s_or_b64 exec, exec, s[34:35]
	s_and_saveexec_b64 s[4:5], s[26:27]
	s_cbranch_execz .LBB7_352
.LBB7_927:
	; divergent unreachable
	s_endpgm
	.section	.rodata,"a",@progbits
	.p2align	6, 0x0
	.amdhsa_kernel _Z8resynCutPKiS0_S0_S0_PKyPKjiS0_PyPiS6_S6_PjS0_S4_ii
		.amdhsa_group_segment_fixed_size 0
		.amdhsa_private_segment_fixed_size 41488
		.amdhsa_kernarg_size 384
		.amdhsa_user_sgpr_count 8
		.amdhsa_user_sgpr_private_segment_buffer 1
		.amdhsa_user_sgpr_dispatch_ptr 0
		.amdhsa_user_sgpr_queue_ptr 0
		.amdhsa_user_sgpr_kernarg_segment_ptr 1
		.amdhsa_user_sgpr_dispatch_id 0
		.amdhsa_user_sgpr_flat_scratch_init 1
		.amdhsa_user_sgpr_private_segment_size 0
		.amdhsa_uses_dynamic_stack 1
		.amdhsa_system_sgpr_private_segment_wavefront_offset 1
		.amdhsa_system_sgpr_workgroup_id_x 1
		.amdhsa_system_sgpr_workgroup_id_y 0
		.amdhsa_system_sgpr_workgroup_id_z 0
		.amdhsa_system_sgpr_workgroup_info 0
		.amdhsa_system_vgpr_workitem_id 0
		.amdhsa_next_free_vgpr 64
		.amdhsa_next_free_sgpr 102
		.amdhsa_reserve_vcc 1
		.amdhsa_reserve_flat_scratch 1
		.amdhsa_float_round_mode_32 0
		.amdhsa_float_round_mode_16_64 0
		.amdhsa_float_denorm_mode_32 3
		.amdhsa_float_denorm_mode_16_64 3
		.amdhsa_dx10_clamp 1
		.amdhsa_ieee_mode 1
		.amdhsa_fp16_overflow 0
		.amdhsa_exception_fp_ieee_invalid_op 0
		.amdhsa_exception_fp_denorm_src 0
		.amdhsa_exception_fp_ieee_div_zero 0
		.amdhsa_exception_fp_ieee_overflow 0
		.amdhsa_exception_fp_ieee_underflow 0
		.amdhsa_exception_fp_ieee_inexact 0
		.amdhsa_exception_int_div_zero 0
	.end_amdhsa_kernel
	.text
.Lfunc_end7:
	.size	_Z8resynCutPKiS0_S0_S0_PKyPKjiS0_PyPiS6_S6_PjS0_S4_ii, .Lfunc_end7-_Z8resynCutPKiS0_S0_S0_PKyPKjiS0_PyPiS6_S6_PjS0_S4_ii
                                        ; -- End function
	.set _Z8resynCutPKiS0_S0_S0_PKyPKjiS0_PyPiS6_S6_PjS0_S4_ii.num_vgpr, max(64, .L_ZN3sop13minatoIsopRecEPKjS1_iPNS_3SopEP7VecsMemIjLi8192EE.num_vgpr, .L_ZN3sop12sopFactorRecEPNS_3SopEiP7VecsMemIjLi8192EEPN8subgUtil4SubgILi256EEE.num_vgpr, .L__assert_fail.num_vgpr)
	.set _Z8resynCutPKiS0_S0_S0_PKyPKjiS0_PyPiS6_S6_PjS0_S4_ii.num_agpr, max(0, .L_ZN3sop13minatoIsopRecEPKjS1_iPNS_3SopEP7VecsMemIjLi8192EE.num_agpr, .L_ZN3sop12sopFactorRecEPNS_3SopEiP7VecsMemIjLi8192EEPN8subgUtil4SubgILi256EEE.num_agpr, .L__assert_fail.num_agpr)
	.set _Z8resynCutPKiS0_S0_S0_PKyPKjiS0_PyPiS6_S6_PjS0_S4_ii.numbered_sgpr, max(102, .L_ZN3sop13minatoIsopRecEPKjS1_iPNS_3SopEP7VecsMemIjLi8192EE.numbered_sgpr, .L_ZN3sop12sopFactorRecEPNS_3SopEiP7VecsMemIjLi8192EEPN8subgUtil4SubgILi256EEE.numbered_sgpr, .L__assert_fail.numbered_sgpr)
	.set _Z8resynCutPKiS0_S0_S0_PKyPKjiS0_PyPiS6_S6_PjS0_S4_ii.num_named_barrier, max(0, .L_ZN3sop13minatoIsopRecEPKjS1_iPNS_3SopEP7VecsMemIjLi8192EE.num_named_barrier, .L_ZN3sop12sopFactorRecEPNS_3SopEiP7VecsMemIjLi8192EEPN8subgUtil4SubgILi256EEE.num_named_barrier, .L__assert_fail.num_named_barrier)
	.set _Z8resynCutPKiS0_S0_S0_PKyPKjiS0_PyPiS6_S6_PjS0_S4_ii.private_seg_size, 41136+max(.L_ZN3sop13minatoIsopRecEPKjS1_iPNS_3SopEP7VecsMemIjLi8192EE.private_seg_size, .L_ZN3sop12sopFactorRecEPNS_3SopEiP7VecsMemIjLi8192EEPN8subgUtil4SubgILi256EEE.private_seg_size, .L__assert_fail.private_seg_size)
	.set _Z8resynCutPKiS0_S0_S0_PKyPKjiS0_PyPiS6_S6_PjS0_S4_ii.uses_vcc, or(1, .L_ZN3sop13minatoIsopRecEPKjS1_iPNS_3SopEP7VecsMemIjLi8192EE.uses_vcc, .L_ZN3sop12sopFactorRecEPNS_3SopEiP7VecsMemIjLi8192EEPN8subgUtil4SubgILi256EEE.uses_vcc, .L__assert_fail.uses_vcc)
	.set _Z8resynCutPKiS0_S0_S0_PKyPKjiS0_PyPiS6_S6_PjS0_S4_ii.uses_flat_scratch, or(1, .L_ZN3sop13minatoIsopRecEPKjS1_iPNS_3SopEP7VecsMemIjLi8192EE.uses_flat_scratch, .L_ZN3sop12sopFactorRecEPNS_3SopEiP7VecsMemIjLi8192EEPN8subgUtil4SubgILi256EEE.uses_flat_scratch, .L__assert_fail.uses_flat_scratch)
	.set _Z8resynCutPKiS0_S0_S0_PKyPKjiS0_PyPiS6_S6_PjS0_S4_ii.has_dyn_sized_stack, or(0, .L_ZN3sop13minatoIsopRecEPKjS1_iPNS_3SopEP7VecsMemIjLi8192EE.has_dyn_sized_stack, .L_ZN3sop12sopFactorRecEPNS_3SopEiP7VecsMemIjLi8192EEPN8subgUtil4SubgILi256EEE.has_dyn_sized_stack, .L__assert_fail.has_dyn_sized_stack)
	.set _Z8resynCutPKiS0_S0_S0_PKyPKjiS0_PyPiS6_S6_PjS0_S4_ii.has_recursion, or(1, .L_ZN3sop13minatoIsopRecEPKjS1_iPNS_3SopEP7VecsMemIjLi8192EE.has_recursion, .L_ZN3sop12sopFactorRecEPNS_3SopEiP7VecsMemIjLi8192EEPN8subgUtil4SubgILi256EEE.has_recursion, .L__assert_fail.has_recursion)
	.set _Z8resynCutPKiS0_S0_S0_PKyPKjiS0_PyPiS6_S6_PjS0_S4_ii.has_indirect_call, or(0, .L_ZN3sop13minatoIsopRecEPKjS1_iPNS_3SopEP7VecsMemIjLi8192EE.has_indirect_call, .L_ZN3sop12sopFactorRecEPNS_3SopEiP7VecsMemIjLi8192EEPN8subgUtil4SubgILi256EEE.has_indirect_call, .L__assert_fail.has_indirect_call)
	.section	.AMDGPU.csdata,"",@progbits
; Kernel info:
; codeLenInByte = 46144
; TotalNumSgprs: 108
; NumVgprs: 64
; ScratchSize: 41488
; MemoryBound: 0
; FloatMode: 240
; IeeeMode: 1
; LDSByteSize: 0 bytes/workgroup (compile time only)
; SGPRBlocks: 13
; VGPRBlocks: 15
; NumSGPRsForWavesPerEU: 108
; NumVGPRsForWavesPerEU: 64
; Occupancy: 4
; WaveLimiterHint : 1
; COMPUTE_PGM_RSRC2:SCRATCH_EN: 1
; COMPUTE_PGM_RSRC2:USER_SGPR: 8
; COMPUTE_PGM_RSRC2:TRAP_HANDLER: 0
; COMPUTE_PGM_RSRC2:TGID_X_EN: 1
; COMPUTE_PGM_RSRC2:TGID_Y_EN: 0
; COMPUTE_PGM_RSRC2:TGID_Z_EN: 0
; COMPUTE_PGM_RSRC2:TIDIG_COMP_CNT: 0
	.text
	.protected	_Z15factorFromTruthPKiS0_PyPiS2_S2_PKjS4_S0_S4_i ; -- Begin function _Z15factorFromTruthPKiS0_PyPiS2_S2_PKjS4_S0_S4_i
	.globl	_Z15factorFromTruthPKiS0_PyPiS2_S2_PKjS4_S0_S4_i
	.p2align	8
	.type	_Z15factorFromTruthPKiS0_PyPiS2_S2_PKjS4_S0_S4_i,@function
_Z15factorFromTruthPKiS0_PyPiS2_S2_PKjS4_S0_S4_i: ; @_Z15factorFromTruthPKiS0_PyPiS2_S2_PKjS4_S0_S4_i
; %bb.0:
	s_add_u32 flat_scratch_lo, s6, s9
	s_addc_u32 flat_scratch_hi, s7, 0
	s_mov_b64 s[44:45], s[4:5]
	s_load_dword s4, s[4:5], 0x64
	s_nop 0
	s_load_dword s10, s[44:45], 0x50
	s_add_u32 s0, s0, s9
	s_addc_u32 s1, s1, 0
	s_add_u32 s6, s44, 0x58
	s_addc_u32 s7, s45, 0
	s_waitcnt lgkmcnt(0)
	s_and_b32 s4, s4, 0xffff
                                        ; implicit-def: $vgpr45 : SGPR spill to VGPR lane
	s_mul_i32 s8, s8, s4
	v_writelane_b32 v45, s6, 0
	v_add_u32_e32 v2, s8, v0
	s_lshl_b32 s4, s10, 1
	v_writelane_b32 v45, s7, 1
	v_mov_b32_e32 v5, 0
	v_mov_b32_e32 v0, 0x8020
	v_cmp_gt_i32_e32 vcc, s4, v2
	s_mov_b64 s[6:7], -1
	s_mov_b64 s[4:5], 0
	s_mov_b64 s[36:37], 0
	;; [unrolled: 1-line block ×4, first 2 shown]
	s_mov_b32 s32, 0x221000
	buffer_store_dword v5, v0, s[0:3], 0 offen
	s_and_saveexec_b64 s[46:47], vcc
	s_cbranch_execz .LBB8_415
; %bb.1:
	v_cmp_gt_i32_e64 s[4:5], s10, v2
	v_mov_b32_e32 v0, s10
	v_cmp_le_i32_e64 s[28:29], s10, v2
	s_load_dwordx16 s[48:63], s[44:45], 0x0
	v_writelane_b32 v45, s4, 2
	v_cndmask_b32_e64 v3, 0, v0, s[28:29]
	v_writelane_b32 v45, s5, 3
	v_sub_u32_e32 v0, v2, v3
	s_mov_b32 s4, 0x220a00
	s_nop 0
	buffer_store_dword v0, off, s[0:3], s4  ; 4-byte Folded Spill
	s_nop 0
	buffer_store_dword v1, off, s[0:3], s4 offset:4 ; 4-byte Folded Spill
	v_mov_b32_e32 v0, 0
	v_mov_b32_e32 v1, 0
	v_cmp_ne_u32_e32 vcc, v2, v3
	v_writelane_b32 v45, s10, 4
	s_and_saveexec_b64 s[6:7], vcc
	s_cbranch_execz .LBB8_3
; %bb.2:
	buffer_load_dword v0, off, s[0:3], s4   ; 4-byte Folded Reload
	buffer_load_dword v1, off, s[0:3], s4 offset:4 ; 4-byte Folded Reload
	s_waitcnt lgkmcnt(0)
	v_mov_b32_e32 v2, s51
	s_waitcnt vmcnt(1)
	v_mov_b32_e32 v3, v0
	v_ashrrev_i32_e32 v4, 31, v3
	s_waitcnt vmcnt(0)
	v_lshlrev_b64 v[0:1], 2, v[3:4]
	v_add_co_u32_e64 v0, s[4:5], s50, v0
	v_addc_co_u32_e64 v1, s[4:5], v2, v1, s[4:5]
	global_load_dword v5, v[0:1], off offset:-4
	v_mov_b32_e32 v0, v3
	s_mov_b32 s4, 0x220a00
	s_nop 1
	buffer_store_dword v0, off, s[0:3], s4  ; 4-byte Folded Spill
	s_nop 0
	buffer_store_dword v1, off, s[0:3], s4 offset:4 ; 4-byte Folded Spill
	v_mov_b32_e32 v0, v3
	v_mov_b32_e32 v1, v4
.LBB8_3:
	s_or_b64 exec, exec, s[6:7]
	v_lshlrev_b64 v[1:2], 2, v[0:1]
	s_waitcnt lgkmcnt(0)
	v_mov_b32_e32 v0, s51
	v_add_co_u32_e64 v3, s[4:5], s50, v1
	v_addc_co_u32_e64 v4, s[4:5], v0, v2, s[4:5]
	global_load_dword v43, v[3:4], off
	s_load_dwordx2 s[4:5], s[44:45], 0x40
	v_mov_b32_e32 v0, 0
	s_and_saveexec_b64 s[6:7], vcc
	s_cbranch_execz .LBB8_5
; %bb.4:
	s_waitcnt lgkmcnt(0)
	v_mov_b32_e32 v0, s5
	v_add_co_u32_e32 v3, vcc, s4, v1
	v_addc_co_u32_e32 v4, vcc, v0, v2, vcc
	global_load_dword v0, v[3:4], off offset:-4
.LBB8_5:
	s_or_b64 exec, exec, s[6:7]
	s_waitcnt lgkmcnt(0)
	v_mov_b32_e32 v3, s5
	v_add_co_u32_e32 v1, vcc, s4, v1
	v_addc_co_u32_e32 v2, vcc, v3, v2, vcc
	global_load_dword v1, v[1:2], off
	s_waitcnt vmcnt(4)
	v_mov_b32_e32 v2, v5
	s_mov_b32 s4, 0x220c00
	buffer_store_dword v2, off, s[0:3], s4  ; 4-byte Folded Spill
	s_nop 0
	buffer_store_dword v3, off, s[0:3], s4 offset:4 ; 4-byte Folded Spill
	s_waitcnt vmcnt(3)
	v_sub_u32_e32 v41, v43, v5
	v_add_u32_e32 v2, -5, v41
	v_lshlrev_b32_e64 v2, v2, 1
	v_cmp_lt_i32_e32 vcc, 5, v41
	v_cndmask_b32_e32 v2, 1, v2, vcc
	s_mov_b64 s[4:5], 0
	s_mov_b64 s[34:35], 0
	v_writelane_b32 v45, s4, 5
	v_writelane_b32 v45, s5, 6
	s_waitcnt vmcnt(2)
	v_sub_u32_e32 v46, v1, v0
	v_cmp_ne_u32_e32 vcc, v46, v2
	s_and_saveexec_b64 s[4:5], vcc
	s_xor_b64 s[26:27], exec, s[4:5]
	s_cbranch_execz .LBB8_7
; %bb.6:
	s_add_u32 s8, s44, 0x58
	s_addc_u32 s9, s45, 0
	s_getpc_b64 s[4:5]
	s_add_u32 s4, s4, .str.12@rel32@lo+4
	s_addc_u32 s5, s5, .str.12@rel32@hi+12
	s_getpc_b64 s[6:7]
	s_add_u32 s6, s6, .str.1@rel32@lo+4
	s_addc_u32 s7, s7, .str.1@rel32@hi+12
	s_getpc_b64 s[10:11]
	s_add_u32 s10, s10, __PRETTY_FUNCTION__._Z15factorFromTruthPKiS0_PyPiS2_S2_PKjS4_S0_S4_i@rel32@lo+4
	s_addc_u32 s11, s11, __PRETTY_FUNCTION__._Z15factorFromTruthPKiS0_PyPiS2_S2_PKjS4_S0_S4_i@rel32@hi+12
	s_getpc_b64 s[12:13]
	s_add_u32 s12, s12, __assert_fail@rel32@lo+4
	s_addc_u32 s13, s13, __assert_fail@rel32@hi+12
	v_mov_b32_e32 v0, s4
	v_mov_b32_e32 v1, s5
	;; [unrolled: 1-line block ×7, first 2 shown]
	s_swappc_b64 s[30:31], s[12:13]
	s_mov_b64 s[4:5], exec
	v_writelane_b32 v45, s4, 5
	v_writelane_b32 v45, s5, 6
                                        ; implicit-def: $vgpr1
	s_mov_b32 s4, 0x220a00
	s_nop 2
	buffer_store_dword v1, off, s[0:3], s4  ; 4-byte Folded Spill
	s_nop 0
	buffer_store_dword v2, off, s[0:3], s4 offset:4 ; 4-byte Folded Spill
                                        ; implicit-def: $vgpr1
	s_mov_b32 s4, 0x220c00
                                        ; implicit-def: $vgpr46
                                        ; implicit-def: $vgpr41
                                        ; implicit-def: $vgpr0
                                        ; implicit-def: $vgpr43
	buffer_store_dword v1, off, s[0:3], s4  ; 4-byte Folded Spill
	s_nop 0
	buffer_store_dword v2, off, s[0:3], s4 offset:4 ; 4-byte Folded Spill
.LBB8_7:
	s_or_saveexec_b64 s[4:5], s[26:27]
	s_mov_b64 s[6:7], 0
	s_mov_b64 s[10:11], 0
	;; [unrolled: 1-line block ×3, first 2 shown]
	v_writelane_b32 v45, s4, 7
	v_writelane_b32 v45, s5, 8
	s_xor_b64 exec, exec, s[4:5]
	s_cbranch_execz .LBB8_414
; %bb.8:
	v_writelane_b32 v45, s46, 9
	v_writelane_b32 v45, s47, 10
	v_mov_b32_e32 v2, s61
	v_mov_b32_e32 v3, s63
	v_cndmask_b32_e64 v2, v2, v3, s[28:29]
	v_mov_b32_e32 v3, s60
	v_writelane_b32 v45, s48, 11
	v_writelane_b32 v45, s49, 12
	;; [unrolled: 1-line block ×15, first 2 shown]
	v_ashrrev_i32_e32 v1, 31, v0
	v_writelane_b32 v45, s63, 26
	v_mov_b32_e32 v4, s62
	v_writelane_b32 v45, s28, 27
	v_lshlrev_b64 v[0:1], 2, v[0:1]
	v_writelane_b32 v45, s29, 28
	v_cndmask_b32_e64 v3, v3, v4, s[28:29]
	s_mov_b64 s[10:11], src_private_base
	v_add_co_u32_e32 v40, vcc, v3, v0
	s_add_u32 s8, s44, 0x58
	v_writelane_b32 v45, s44, 29
	v_addc_co_u32_e32 v42, vcc, v2, v1, vcc
	v_writelane_b32 v45, s45, 30
	s_mov_b32 s7, s11
	v_mov_b32_e32 v47, 0
	s_addc_u32 s9, s45, 0
	v_mov_b32_e32 v0, v40
	v_mov_b32_e32 v1, v42
	v_writelane_b32 v45, s6, 31
	buffer_store_dword v47, off, s[0:3], 0 offset:24
	s_getpc_b64 s[4:5]
	s_add_u32 s4, s4, _ZN3sop13minatoIsopRecEPKjS1_iPNS_3SopEP7VecsMemIjLi8192EE@rel32@lo+4
	s_addc_u32 s5, s5, _ZN3sop13minatoIsopRecEPKjS1_iPNS_3SopEP7VecsMemIjLi8192EE@rel32@hi+12
	v_mov_b32_e32 v2, v40
	v_mov_b32_e32 v3, v42
	;; [unrolled: 1-line block ×6, first 2 shown]
	v_writelane_b32 v45, s7, 32
	s_or_saveexec_b64 s[100:101], -1
	s_mov_b32 s6, 0x220e00
	buffer_store_dword v45, off, s[0:3], s6 ; 4-byte Folded Spill
	s_mov_b64 exec, s[100:101]
	v_mov_b32_e32 v8, s11
	s_swappc_b64 s[30:31], s[4:5]
	s_mov_b64 s[6:7], 0
                                        ; implicit-def: $sgpr4_sgpr5
                                        ; implicit-def: $sgpr10_sgpr11
                                        ; implicit-def: $sgpr8_sgpr9
	s_branch .LBB8_10
.LBB8_9:                                ;   in Loop: Header=BB8_10 Depth=1
	s_or_b64 exec, exec, s[12:13]
	s_xor_b64 s[12:13], s[8:9], -1
	s_and_b64 s[14:15], exec, s[10:11]
	s_or_b64 s[6:7], s[14:15], s[6:7]
	s_andn2_b64 s[4:5], s[4:5], exec
	s_and_b64 s[12:13], s[12:13], exec
	s_or_b64 s[4:5], s[4:5], s[12:13]
	s_andn2_b64 exec, exec, s[6:7]
	s_cbranch_execz .LBB8_12
.LBB8_10:                               ; =>This Inner Loop Header: Depth=1
	v_cmp_lt_i32_e32 vcc, 0, v46
	s_or_b64 s[8:9], s[8:9], exec
	s_or_b64 s[10:11], s[10:11], exec
	s_and_saveexec_b64 s[12:13], vcc
	s_cbranch_execz .LBB8_9
; %bb.11:                               ;   in Loop: Header=BB8_10 Depth=1
	v_add_u32_e32 v46, -1, v46
	v_lshlrev_b64 v[2:3], 2, v[46:47]
	s_andn2_b64 s[10:11], s[10:11], exec
	v_add_co_u32_e32 v4, vcc, v40, v2
	v_addc_co_u32_e32 v5, vcc, v42, v3, vcc
	v_add_co_u32_e32 v2, vcc, v0, v2
	v_addc_co_u32_e32 v3, vcc, v1, v3, vcc
	global_load_dword v4, v[4:5], off
	s_andn2_b64 s[8:9], s[8:9], exec
	flat_load_dword v2, v[2:3]
	s_waitcnt vmcnt(0) lgkmcnt(0)
	v_cmp_ne_u32_e32 vcc, v4, v2
	s_and_b64 s[14:15], vcc, exec
	s_or_b64 s[10:11], s[10:11], s[14:15]
	s_branch .LBB8_9
.LBB8_12:
	s_or_b64 exec, exec, s[6:7]
	s_or_saveexec_b64 s[100:101], -1
	s_mov_b32 s6, 0x220e00
	buffer_load_dword v45, off, s[0:3], s6  ; 4-byte Folded Reload
	s_mov_b64 exec, s[100:101]
	s_waitcnt vmcnt(0)
	v_readlane_b32 s98, v45, 5
	v_readlane_b32 s99, v45, 6
	s_mov_b64 s[76:77], s[98:99]
	s_and_saveexec_b64 s[6:7], s[4:5]
	v_readlane_b32 s44, v45, 29
	s_xor_b64 s[26:27], exec, s[6:7]
	v_readlane_b32 s45, v45, 30
	s_cbranch_execz .LBB8_14
; %bb.13:
	s_add_u32 s8, s44, 0x58
	s_addc_u32 s9, s45, 0
	s_getpc_b64 s[4:5]
	s_add_u32 s4, s4, .str.15@rel32@lo+4
	s_addc_u32 s5, s5, .str.15@rel32@hi+12
	s_getpc_b64 s[6:7]
	s_add_u32 s6, s6, .str.16@rel32@lo+4
	s_addc_u32 s7, s7, .str.16@rel32@hi+12
	s_getpc_b64 s[10:11]
	s_add_u32 s10, s10, __PRETTY_FUNCTION__._ZN3sop10minatoIsopEPKjiP7VecsMemIjLi8192EE@rel32@lo+4
	s_addc_u32 s11, s11, __PRETTY_FUNCTION__._ZN3sop10minatoIsopEPKjiP7VecsMemIjLi8192EE@rel32@hi+12
	s_getpc_b64 s[12:13]
	s_add_u32 s12, s12, __assert_fail@rel32@lo+4
	s_addc_u32 s13, s13, __assert_fail@rel32@hi+12
	v_mov_b32_e32 v0, s4
	v_mov_b32_e32 v1, s5
	;; [unrolled: 1-line block ×7, first 2 shown]
	s_swappc_b64 s[30:31], s[12:13]
	v_readlane_b32 s4, v45, 5
	v_readlane_b32 s5, v45, 6
	s_or_b64 s[76:77], s[4:5], exec
                                        ; implicit-def: $vgpr0
	s_mov_b32 s4, 0x220a00
	s_nop 1
	buffer_store_dword v0, off, s[0:3], s4  ; 4-byte Folded Spill
	s_nop 0
	buffer_store_dword v1, off, s[0:3], s4 offset:4 ; 4-byte Folded Spill
                                        ; implicit-def: $vgpr0
	s_mov_b32 s4, 0x220c00
                                        ; implicit-def: $vgpr41
                                        ; implicit-def: $vgpr43
	buffer_store_dword v0, off, s[0:3], s4  ; 4-byte Folded Spill
	s_nop 0
	buffer_store_dword v1, off, s[0:3], s4 offset:4 ; 4-byte Folded Spill
.LBB8_14:
	s_or_saveexec_b64 s[64:65], s[26:27]
	v_readlane_b32 s46, v45, 9
	s_mov_b64 s[4:5], 0
	s_mov_b64 s[8:9], 0
	;; [unrolled: 1-line block ×4, first 2 shown]
	v_readlane_b32 s47, v45, 10
	s_xor_b64 exec, exec, s[64:65]
	s_cbranch_execz .LBB8_413
; %bb.15:
	buffer_load_dword v42, off, s[0:3], 0 offset:12
	s_mov_b64 s[26:27], 0
	s_waitcnt vmcnt(0)
	v_cmp_lt_i32_e32 vcc, 0, v42
	s_and_saveexec_b64 s[4:5], vcc
	s_xor_b64 s[6:7], exec, s[4:5]
	s_cbranch_execz .LBB8_19
; %bb.16:
	v_cmp_eq_u32_e32 vcc, 1, v42
	s_mov_b64 s[4:5], -1
	s_and_saveexec_b64 s[8:9], vcc
	s_cbranch_execz .LBB8_18
; %bb.17:
	buffer_load_dword v0, off, s[0:3], 0 offset:16
	buffer_load_dword v1, off, s[0:3], 0 offset:20
	s_waitcnt vmcnt(0)
	flat_load_dword v0, v[0:1]
	s_waitcnt vmcnt(0) lgkmcnt(0)
	v_cmp_eq_u32_e32 vcc, 0, v0
	v_cmp_ne_u32_e64 s[4:5], 0, v0
	s_and_b64 s[10:11], vcc, exec
	s_orn2_b64 s[4:5], s[4:5], exec
.LBB8_18:
	s_or_b64 exec, exec, s[8:9]
	s_and_b64 s[26:27], s[10:11], exec
	s_and_b64 s[8:9], s[4:5], exec
.LBB8_19:
	s_andn2_saveexec_b64 s[4:5], s[6:7]
; %bb.20:
	v_cmp_ne_u32_e32 vcc, 0, v42
	s_andn2_b64 s[6:7], s[8:9], exec
	s_and_b64 s[8:9], vcc, exec
	s_or_b64 s[26:27], s[26:27], exec
	s_or_b64 s[8:9], s[6:7], s[8:9]
; %bb.21:
	s_or_b64 exec, exec, s[4:5]
	s_mov_b64 s[66:67], 0
	s_mov_b64 s[4:5], 0
	;; [unrolled: 1-line block ×3, first 2 shown]
	s_and_saveexec_b64 s[28:29], s[8:9]
	s_cbranch_execz .LBB8_180
; %bb.22:
	v_cmp_lt_i32_e32 vcc, 0, v42
	s_mov_b64 s[4:5], -1
	v_mov_b32_e32 v44, -1
	s_mov_b64 s[38:39], s[76:77]
	s_and_saveexec_b64 s[34:35], vcc
	s_cbranch_execz .LBB8_166
; %bb.23:
	buffer_load_dword v0, off, s[0:3], 0 offset:24
	s_movk_i32 s4, 0x2001
	s_mov_b64 s[36:37], 0
	v_mov_b32_e32 v44, -1
	s_waitcnt vmcnt(0)
	v_add_u32_e32 v1, v0, v42
	v_cmp_gt_i32_e32 vcc, s4, v1
	s_and_saveexec_b64 s[4:5], vcc
	s_xor_b64 s[4:5], exec, s[4:5]
	s_cbranch_execz .LBB8_25
; %bb.24:
	v_lshlrev_b32_e32 v0, 2, v0
	s_mov_b32 s6, 24
	s_mov_b64 s[36:37], exec
	buffer_store_dword v1, off, s[0:3], 0 offset:24
	v_add3_u32 v44, s6, v0, 4
.LBB8_25:
	s_or_saveexec_b64 s[38:39], s[4:5]
	s_mov_b64 s[4:5], s[76:77]
	s_xor_b64 exec, exec, s[38:39]
	s_cbranch_execz .LBB8_165
; %bb.26:
	v_readlane_b32 s4, v45, 0
	v_readlane_b32 s5, v45, 1
	s_load_dwordx2 s[6:7], s[4:5], 0x50
	v_mbcnt_lo_u32_b32 v0, -1, 0
	v_mbcnt_hi_u32_b32 v30, -1, v0
	v_readfirstlane_b32 s4, v30
	v_mov_b32_e32 v5, 0
	v_mov_b32_e32 v6, 0
	v_cmp_eq_u32_e64 s[4:5], s4, v30
	s_and_saveexec_b64 s[8:9], s[4:5]
	s_cbranch_execz .LBB8_31
; %bb.27:
	v_mov_b32_e32 v0, 0
	s_waitcnt lgkmcnt(0)
	global_load_dwordx2 v[3:4], v0, s[6:7] offset:24 glc
	s_waitcnt vmcnt(0)
	buffer_wbinvl1_vol
	global_load_dwordx2 v[1:2], v0, s[6:7] offset:40
	global_load_dwordx2 v[5:6], v0, s[6:7]
	s_waitcnt vmcnt(1)
	v_and_b32_e32 v1, v1, v3
	v_and_b32_e32 v2, v2, v4
	v_mul_lo_u32 v2, v2, 24
	v_mul_hi_u32 v7, v1, 24
	v_mul_lo_u32 v1, v1, 24
	v_add_u32_e32 v2, v7, v2
	s_waitcnt vmcnt(0)
	v_add_co_u32_e32 v1, vcc, v5, v1
	v_addc_co_u32_e32 v2, vcc, v6, v2, vcc
	global_load_dwordx2 v[1:2], v[1:2], off glc
	s_waitcnt vmcnt(0)
	global_atomic_cmpswap_x2 v[5:6], v0, v[1:4], s[6:7] offset:24 glc
	s_waitcnt vmcnt(0)
	buffer_wbinvl1_vol
	v_cmp_ne_u64_e32 vcc, v[5:6], v[3:4]
	s_and_saveexec_b64 s[10:11], vcc
	s_cbranch_execz .LBB8_30
.LBB8_28:                               ; =>This Inner Loop Header: Depth=1
	s_sleep 1
	global_load_dwordx2 v[1:2], v0, s[6:7] offset:40
	global_load_dwordx2 v[7:8], v0, s[6:7]
	v_mov_b32_e32 v3, v5
	v_mov_b32_e32 v4, v6
	s_waitcnt vmcnt(1)
	v_and_b32_e32 v1, v1, v3
	s_waitcnt vmcnt(0)
	v_mad_u64_u32 v[5:6], s[14:15], v1, 24, v[7:8]
	v_and_b32_e32 v2, v2, v4
	v_mov_b32_e32 v1, v6
	v_mad_u64_u32 v[1:2], s[14:15], v2, 24, v[1:2]
	v_mov_b32_e32 v6, v1
	global_load_dwordx2 v[1:2], v[5:6], off glc
	s_waitcnt vmcnt(0)
	global_atomic_cmpswap_x2 v[5:6], v0, v[1:4], s[6:7] offset:24 glc
	s_waitcnt vmcnt(0)
	buffer_wbinvl1_vol
	v_cmp_eq_u64_e32 vcc, v[5:6], v[3:4]
	s_or_b64 s[12:13], vcc, s[12:13]
	s_andn2_b64 exec, exec, s[12:13]
	s_cbranch_execnz .LBB8_28
; %bb.29:
	s_or_b64 exec, exec, s[12:13]
.LBB8_30:
	s_or_b64 exec, exec, s[10:11]
.LBB8_31:
	s_or_b64 exec, exec, s[8:9]
	v_mov_b32_e32 v4, 0
	s_waitcnt lgkmcnt(0)
	global_load_dwordx2 v[7:8], v4, s[6:7] offset:40
	global_load_dwordx4 v[0:3], v4, s[6:7]
	v_readfirstlane_b32 s9, v6
	v_readfirstlane_b32 s8, v5
	s_mov_b64 s[10:11], exec
	s_waitcnt vmcnt(1)
	v_readfirstlane_b32 s12, v7
	v_readfirstlane_b32 s13, v8
	s_and_b64 s[12:13], s[12:13], s[8:9]
	s_mul_i32 s14, s13, 24
	s_mul_hi_u32 s15, s12, 24
	s_mul_i32 s16, s12, 24
	s_add_i32 s14, s15, s14
	v_mov_b32_e32 v5, s14
	s_waitcnt vmcnt(0)
	v_add_co_u32_e32 v7, vcc, s16, v0
	v_addc_co_u32_e32 v8, vcc, v1, v5, vcc
	s_and_saveexec_b64 s[14:15], s[4:5]
	s_cbranch_execz .LBB8_33
; %bb.32:
	v_mov_b32_e32 v9, s10
	v_mov_b32_e32 v10, s11
	;; [unrolled: 1-line block ×4, first 2 shown]
	global_store_dwordx4 v[7:8], v[9:12], off offset:8
.LBB8_33:
	s_or_b64 exec, exec, s[14:15]
	s_lshl_b64 s[10:11], s[12:13], 12
	v_mov_b32_e32 v5, s11
	v_add_co_u32_e32 v2, vcc, s10, v2
	v_addc_co_u32_e32 v11, vcc, v3, v5, vcc
	v_lshlrev_b32_e32 v29, 6, v30
	s_mov_b32 s12, 0
	v_mov_b32_e32 v3, 33
	v_mov_b32_e32 v5, v4
	;; [unrolled: 1-line block ×3, first 2 shown]
	v_readfirstlane_b32 s10, v2
	v_readfirstlane_b32 s11, v11
	v_add_co_u32_e32 v9, vcc, v2, v29
	s_mov_b32 s13, s12
	s_mov_b32 s14, s12
	;; [unrolled: 1-line block ×3, first 2 shown]
	s_nop 0
	global_store_dwordx4 v29, v[3:6], s[10:11]
	v_mov_b32_e32 v2, s12
	v_addc_co_u32_e32 v10, vcc, 0, v11, vcc
	v_mov_b32_e32 v3, s13
	v_mov_b32_e32 v4, s14
	;; [unrolled: 1-line block ×3, first 2 shown]
	global_store_dwordx4 v29, v[2:5], s[10:11] offset:16
	global_store_dwordx4 v29, v[2:5], s[10:11] offset:32
	;; [unrolled: 1-line block ×3, first 2 shown]
	s_and_saveexec_b64 s[10:11], s[4:5]
	s_cbranch_execz .LBB8_41
; %bb.34:
	v_mov_b32_e32 v6, 0
	global_load_dwordx2 v[13:14], v6, s[6:7] offset:32 glc
	global_load_dwordx2 v[2:3], v6, s[6:7] offset:40
	v_mov_b32_e32 v11, s8
	v_mov_b32_e32 v12, s9
	s_waitcnt vmcnt(0)
	v_and_b32_e32 v2, s8, v2
	v_and_b32_e32 v3, s9, v3
	v_mul_lo_u32 v3, v3, 24
	v_mul_hi_u32 v4, v2, 24
	v_mul_lo_u32 v2, v2, 24
	v_add_u32_e32 v3, v4, v3
	v_add_co_u32_e32 v4, vcc, v0, v2
	v_addc_co_u32_e32 v5, vcc, v1, v3, vcc
	global_store_dwordx2 v[4:5], v[13:14], off
	s_waitcnt vmcnt(0)
	global_atomic_cmpswap_x2 v[2:3], v6, v[11:14], s[6:7] offset:32 glc
	s_waitcnt vmcnt(0)
	v_cmp_ne_u64_e32 vcc, v[2:3], v[13:14]
	s_and_saveexec_b64 s[12:13], vcc
	s_cbranch_execz .LBB8_37
; %bb.35:
	s_mov_b64 s[14:15], 0
.LBB8_36:                               ; =>This Inner Loop Header: Depth=1
	s_sleep 1
	global_store_dwordx2 v[4:5], v[2:3], off
	v_mov_b32_e32 v0, s8
	v_mov_b32_e32 v1, s9
	s_waitcnt vmcnt(0)
	global_atomic_cmpswap_x2 v[0:1], v6, v[0:3], s[6:7] offset:32 glc
	s_waitcnt vmcnt(0)
	v_cmp_eq_u64_e32 vcc, v[0:1], v[2:3]
	v_mov_b32_e32 v3, v1
	s_or_b64 s[14:15], vcc, s[14:15]
	v_mov_b32_e32 v2, v0
	s_andn2_b64 exec, exec, s[14:15]
	s_cbranch_execnz .LBB8_36
.LBB8_37:
	s_or_b64 exec, exec, s[12:13]
	v_mov_b32_e32 v3, 0
	global_load_dwordx2 v[0:1], v3, s[6:7] offset:16
	s_mov_b64 s[12:13], exec
	v_mbcnt_lo_u32_b32 v2, s12, 0
	v_mbcnt_hi_u32_b32 v2, s13, v2
	v_cmp_eq_u32_e32 vcc, 0, v2
	s_and_saveexec_b64 s[14:15], vcc
	s_cbranch_execz .LBB8_39
; %bb.38:
	s_bcnt1_i32_b64 s12, s[12:13]
	v_mov_b32_e32 v2, s12
	s_waitcnt vmcnt(0)
	global_atomic_add_x2 v[0:1], v[2:3], off offset:8
.LBB8_39:
	s_or_b64 exec, exec, s[14:15]
	s_waitcnt vmcnt(0)
	global_load_dwordx2 v[2:3], v[0:1], off offset:16
	s_waitcnt vmcnt(0)
	v_cmp_eq_u64_e32 vcc, 0, v[2:3]
	s_cbranch_vccnz .LBB8_41
; %bb.40:
	global_load_dword v0, v[0:1], off offset:24
	v_mov_b32_e32 v1, 0
	s_waitcnt vmcnt(0)
	v_readfirstlane_b32 s12, v0
	s_and_b32 m0, s12, 0xffffff
	global_store_dwordx2 v[2:3], v[0:1], off
	s_sendmsg sendmsg(MSG_INTERRUPT)
.LBB8_41:
	s_or_b64 exec, exec, s[10:11]
	s_branch .LBB8_45
.LBB8_42:                               ;   in Loop: Header=BB8_45 Depth=1
	s_or_b64 exec, exec, s[10:11]
	v_readfirstlane_b32 s10, v0
	s_cmp_eq_u32 s10, 0
	s_cbranch_scc1 .LBB8_44
; %bb.43:                               ;   in Loop: Header=BB8_45 Depth=1
	s_sleep 1
	s_cbranch_execnz .LBB8_45
	s_branch .LBB8_47
.LBB8_44:
	s_branch .LBB8_47
.LBB8_45:                               ; =>This Inner Loop Header: Depth=1
	v_mov_b32_e32 v0, 1
	s_and_saveexec_b64 s[10:11], s[4:5]
	s_cbranch_execz .LBB8_42
; %bb.46:                               ;   in Loop: Header=BB8_45 Depth=1
	global_load_dword v0, v[7:8], off offset:20 glc
	s_waitcnt vmcnt(0)
	buffer_wbinvl1_vol
	v_and_b32_e32 v0, 1, v0
	s_branch .LBB8_42
.LBB8_47:
	global_load_dwordx2 v[0:1], v[9:10], off
	s_and_saveexec_b64 s[10:11], s[4:5]
	s_cbranch_execz .LBB8_50
; %bb.48:
	v_mov_b32_e32 v8, 0
	global_load_dwordx2 v[2:3], v8, s[6:7] offset:40
	global_load_dwordx2 v[11:12], v8, s[6:7] offset:24 glc
	global_load_dwordx2 v[4:5], v8, s[6:7]
	s_waitcnt vmcnt(2)
	v_readfirstlane_b32 s12, v2
	v_readfirstlane_b32 s13, v3
	s_add_u32 s14, s12, 1
	s_addc_u32 s15, s13, 0
	s_add_u32 s4, s14, s8
	s_addc_u32 s5, s15, s9
	s_cmp_eq_u64 s[4:5], 0
	s_cselect_b32 s5, s15, s5
	s_cselect_b32 s4, s14, s4
	s_and_b64 s[8:9], s[4:5], s[12:13]
	s_mul_i32 s9, s9, 24
	s_mul_hi_u32 s12, s8, 24
	s_mul_i32 s8, s8, 24
	s_add_i32 s9, s12, s9
	v_mov_b32_e32 v2, s9
	s_waitcnt vmcnt(0)
	v_add_co_u32_e32 v6, vcc, s8, v4
	v_addc_co_u32_e32 v7, vcc, v5, v2, vcc
	v_mov_b32_e32 v9, s4
	global_store_dwordx2 v[6:7], v[11:12], off
	v_mov_b32_e32 v10, s5
	s_waitcnt vmcnt(0)
	global_atomic_cmpswap_x2 v[4:5], v8, v[9:12], s[6:7] offset:24 glc
	s_mov_b64 s[8:9], 0
	s_waitcnt vmcnt(0)
	v_cmp_ne_u64_e32 vcc, v[4:5], v[11:12]
	s_and_b64 exec, exec, vcc
	s_cbranch_execz .LBB8_50
.LBB8_49:                               ; =>This Inner Loop Header: Depth=1
	s_sleep 1
	global_store_dwordx2 v[6:7], v[4:5], off
	v_mov_b32_e32 v2, s4
	v_mov_b32_e32 v3, s5
	s_waitcnt vmcnt(0)
	global_atomic_cmpswap_x2 v[2:3], v8, v[2:5], s[6:7] offset:24 glc
	s_waitcnt vmcnt(0)
	v_cmp_eq_u64_e32 vcc, v[2:3], v[4:5]
	v_mov_b32_e32 v5, v3
	s_or_b64 s[8:9], vcc, s[8:9]
	v_mov_b32_e32 v4, v2
	s_andn2_b64 exec, exec, s[8:9]
	s_cbranch_execnz .LBB8_49
.LBB8_50:
	s_or_b64 exec, exec, s[10:11]
	s_getpc_b64 s[8:9]
	s_add_u32 s8, s8, .str.28@rel32@lo+4
	s_addc_u32 s9, s9, .str.28@rel32@hi+12
	s_cmp_lg_u64 s[8:9], 0
	s_cbranch_scc0 .LBB8_136
; %bb.51:
	s_waitcnt vmcnt(0)
	v_and_b32_e32 v6, -3, v0
	v_mov_b32_e32 v7, v1
	s_mov_b64 s[10:11], 35
	v_mov_b32_e32 v26, 0
	v_mov_b32_e32 v4, 2
	;; [unrolled: 1-line block ×3, first 2 shown]
	s_branch .LBB8_53
.LBB8_52:                               ;   in Loop: Header=BB8_53 Depth=1
	s_or_b64 exec, exec, s[16:17]
	s_sub_u32 s10, s10, s12
	s_subb_u32 s11, s11, s13
	s_add_u32 s8, s8, s12
	s_addc_u32 s9, s9, s13
	s_cmp_lg_u64 s[10:11], 0
	s_cbranch_scc0 .LBB8_135
.LBB8_53:                               ; =>This Loop Header: Depth=1
                                        ;     Child Loop BB8_56 Depth 2
                                        ;     Child Loop BB8_64 Depth 2
	;; [unrolled: 1-line block ×11, first 2 shown]
	v_cmp_lt_u64_e64 s[4:5], s[10:11], 56
	v_cmp_gt_u64_e64 s[14:15], s[10:11], 7
	s_and_b64 s[4:5], s[4:5], exec
	s_cselect_b32 s13, s11, 0
	s_cselect_b32 s12, s10, 56
	s_add_u32 s4, s8, 8
	s_addc_u32 s5, s9, 0
	s_and_b64 vcc, exec, s[14:15]
	s_cbranch_vccnz .LBB8_57
; %bb.54:                               ;   in Loop: Header=BB8_53 Depth=1
	s_cmp_eq_u64 s[10:11], 0
	s_cbranch_scc1 .LBB8_58
; %bb.55:                               ;   in Loop: Header=BB8_53 Depth=1
	s_waitcnt vmcnt(0)
	v_mov_b32_e32 v8, 0
	s_lshl_b64 s[4:5], s[12:13], 3
	s_mov_b64 s[14:15], 0
	v_mov_b32_e32 v9, 0
	s_mov_b64 s[16:17], s[8:9]
.LBB8_56:                               ;   Parent Loop BB8_53 Depth=1
                                        ; =>  This Inner Loop Header: Depth=2
	global_load_ubyte v2, v26, s[16:17]
	s_waitcnt vmcnt(0)
	v_and_b32_e32 v25, 0xffff, v2
	v_lshlrev_b64 v[2:3], s14, v[25:26]
	s_add_u32 s14, s14, 8
	s_addc_u32 s15, s15, 0
	s_add_u32 s16, s16, 1
	s_addc_u32 s17, s17, 0
	v_or_b32_e32 v8, v2, v8
	s_cmp_lg_u32 s4, s14
	v_or_b32_e32 v9, v3, v9
	s_cbranch_scc1 .LBB8_56
	s_branch .LBB8_59
.LBB8_57:                               ;   in Loop: Header=BB8_53 Depth=1
	s_mov_b32 s18, 0
	s_branch .LBB8_60
.LBB8_58:                               ;   in Loop: Header=BB8_53 Depth=1
	s_waitcnt vmcnt(0)
	v_mov_b32_e32 v8, 0
	v_mov_b32_e32 v9, 0
.LBB8_59:                               ;   in Loop: Header=BB8_53 Depth=1
	s_mov_b64 s[4:5], s[8:9]
	s_mov_b32 s18, 0
	s_cbranch_execnz .LBB8_61
.LBB8_60:                               ;   in Loop: Header=BB8_53 Depth=1
	global_load_dwordx2 v[8:9], v26, s[8:9]
	s_add_i32 s18, s12, -8
.LBB8_61:                               ;   in Loop: Header=BB8_53 Depth=1
	s_add_u32 s14, s4, 8
	s_addc_u32 s15, s5, 0
	s_cmp_gt_u32 s18, 7
	s_cbranch_scc1 .LBB8_65
; %bb.62:                               ;   in Loop: Header=BB8_53 Depth=1
	s_cmp_eq_u32 s18, 0
	s_cbranch_scc1 .LBB8_66
; %bb.63:                               ;   in Loop: Header=BB8_53 Depth=1
	v_mov_b32_e32 v10, 0
	s_mov_b64 s[14:15], 0
	v_mov_b32_e32 v11, 0
	s_mov_b64 s[16:17], 0
.LBB8_64:                               ;   Parent Loop BB8_53 Depth=1
                                        ; =>  This Inner Loop Header: Depth=2
	s_add_u32 s20, s4, s16
	s_addc_u32 s21, s5, s17
	global_load_ubyte v2, v26, s[20:21]
	s_add_u32 s16, s16, 1
	s_addc_u32 s17, s17, 0
	s_waitcnt vmcnt(0)
	v_and_b32_e32 v25, 0xffff, v2
	v_lshlrev_b64 v[2:3], s14, v[25:26]
	s_add_u32 s14, s14, 8
	s_addc_u32 s15, s15, 0
	v_or_b32_e32 v10, v2, v10
	s_cmp_lg_u32 s18, s16
	v_or_b32_e32 v11, v3, v11
	s_cbranch_scc1 .LBB8_64
	s_branch .LBB8_67
.LBB8_65:                               ;   in Loop: Header=BB8_53 Depth=1
                                        ; implicit-def: $vgpr10_vgpr11
	s_mov_b32 s19, 0
	s_branch .LBB8_68
.LBB8_66:                               ;   in Loop: Header=BB8_53 Depth=1
	v_mov_b32_e32 v10, 0
	v_mov_b32_e32 v11, 0
.LBB8_67:                               ;   in Loop: Header=BB8_53 Depth=1
	s_mov_b64 s[14:15], s[4:5]
	s_mov_b32 s19, 0
	s_cbranch_execnz .LBB8_69
.LBB8_68:                               ;   in Loop: Header=BB8_53 Depth=1
	global_load_dwordx2 v[10:11], v26, s[4:5]
	s_add_i32 s19, s18, -8
.LBB8_69:                               ;   in Loop: Header=BB8_53 Depth=1
	s_add_u32 s4, s14, 8
	s_addc_u32 s5, s15, 0
	s_cmp_gt_u32 s19, 7
	s_cbranch_scc1 .LBB8_73
; %bb.70:                               ;   in Loop: Header=BB8_53 Depth=1
	s_cmp_eq_u32 s19, 0
	s_cbranch_scc1 .LBB8_74
; %bb.71:                               ;   in Loop: Header=BB8_53 Depth=1
	v_mov_b32_e32 v12, 0
	s_mov_b64 s[4:5], 0
	v_mov_b32_e32 v13, 0
	s_mov_b64 s[16:17], 0
.LBB8_72:                               ;   Parent Loop BB8_53 Depth=1
                                        ; =>  This Inner Loop Header: Depth=2
	s_add_u32 s20, s14, s16
	s_addc_u32 s21, s15, s17
	global_load_ubyte v2, v26, s[20:21]
	s_add_u32 s16, s16, 1
	s_addc_u32 s17, s17, 0
	s_waitcnt vmcnt(0)
	v_and_b32_e32 v25, 0xffff, v2
	v_lshlrev_b64 v[2:3], s4, v[25:26]
	s_add_u32 s4, s4, 8
	s_addc_u32 s5, s5, 0
	v_or_b32_e32 v12, v2, v12
	s_cmp_lg_u32 s19, s16
	v_or_b32_e32 v13, v3, v13
	s_cbranch_scc1 .LBB8_72
	s_branch .LBB8_75
.LBB8_73:                               ;   in Loop: Header=BB8_53 Depth=1
	s_mov_b32 s18, 0
	s_branch .LBB8_76
.LBB8_74:                               ;   in Loop: Header=BB8_53 Depth=1
	v_mov_b32_e32 v12, 0
	v_mov_b32_e32 v13, 0
.LBB8_75:                               ;   in Loop: Header=BB8_53 Depth=1
	s_mov_b64 s[4:5], s[14:15]
	s_mov_b32 s18, 0
	s_cbranch_execnz .LBB8_77
.LBB8_76:                               ;   in Loop: Header=BB8_53 Depth=1
	global_load_dwordx2 v[12:13], v26, s[14:15]
	s_add_i32 s18, s19, -8
.LBB8_77:                               ;   in Loop: Header=BB8_53 Depth=1
	s_add_u32 s14, s4, 8
	s_addc_u32 s15, s5, 0
	s_cmp_gt_u32 s18, 7
	s_cbranch_scc1 .LBB8_81
; %bb.78:                               ;   in Loop: Header=BB8_53 Depth=1
	s_cmp_eq_u32 s18, 0
	s_cbranch_scc1 .LBB8_82
; %bb.79:                               ;   in Loop: Header=BB8_53 Depth=1
	v_mov_b32_e32 v14, 0
	s_mov_b64 s[14:15], 0
	v_mov_b32_e32 v15, 0
	s_mov_b64 s[16:17], 0
.LBB8_80:                               ;   Parent Loop BB8_53 Depth=1
                                        ; =>  This Inner Loop Header: Depth=2
	s_add_u32 s20, s4, s16
	s_addc_u32 s21, s5, s17
	global_load_ubyte v2, v26, s[20:21]
	s_add_u32 s16, s16, 1
	s_addc_u32 s17, s17, 0
	s_waitcnt vmcnt(0)
	v_and_b32_e32 v25, 0xffff, v2
	v_lshlrev_b64 v[2:3], s14, v[25:26]
	s_add_u32 s14, s14, 8
	s_addc_u32 s15, s15, 0
	v_or_b32_e32 v14, v2, v14
	s_cmp_lg_u32 s18, s16
	v_or_b32_e32 v15, v3, v15
	s_cbranch_scc1 .LBB8_80
	s_branch .LBB8_83
.LBB8_81:                               ;   in Loop: Header=BB8_53 Depth=1
                                        ; implicit-def: $vgpr14_vgpr15
	s_mov_b32 s19, 0
	s_branch .LBB8_84
.LBB8_82:                               ;   in Loop: Header=BB8_53 Depth=1
	v_mov_b32_e32 v14, 0
	v_mov_b32_e32 v15, 0
.LBB8_83:                               ;   in Loop: Header=BB8_53 Depth=1
	s_mov_b64 s[14:15], s[4:5]
	s_mov_b32 s19, 0
	s_cbranch_execnz .LBB8_85
.LBB8_84:                               ;   in Loop: Header=BB8_53 Depth=1
	global_load_dwordx2 v[14:15], v26, s[4:5]
	s_add_i32 s19, s18, -8
.LBB8_85:                               ;   in Loop: Header=BB8_53 Depth=1
	s_add_u32 s4, s14, 8
	s_addc_u32 s5, s15, 0
	s_cmp_gt_u32 s19, 7
	s_cbranch_scc1 .LBB8_89
; %bb.86:                               ;   in Loop: Header=BB8_53 Depth=1
	s_cmp_eq_u32 s19, 0
	s_cbranch_scc1 .LBB8_90
; %bb.87:                               ;   in Loop: Header=BB8_53 Depth=1
	v_mov_b32_e32 v16, 0
	s_mov_b64 s[4:5], 0
	v_mov_b32_e32 v17, 0
	s_mov_b64 s[16:17], 0
.LBB8_88:                               ;   Parent Loop BB8_53 Depth=1
                                        ; =>  This Inner Loop Header: Depth=2
	s_add_u32 s20, s14, s16
	s_addc_u32 s21, s15, s17
	global_load_ubyte v2, v26, s[20:21]
	s_add_u32 s16, s16, 1
	s_addc_u32 s17, s17, 0
	s_waitcnt vmcnt(0)
	v_and_b32_e32 v25, 0xffff, v2
	v_lshlrev_b64 v[2:3], s4, v[25:26]
	s_add_u32 s4, s4, 8
	s_addc_u32 s5, s5, 0
	v_or_b32_e32 v16, v2, v16
	s_cmp_lg_u32 s19, s16
	v_or_b32_e32 v17, v3, v17
	s_cbranch_scc1 .LBB8_88
	s_branch .LBB8_91
.LBB8_89:                               ;   in Loop: Header=BB8_53 Depth=1
	s_mov_b32 s18, 0
	s_branch .LBB8_92
.LBB8_90:                               ;   in Loop: Header=BB8_53 Depth=1
	v_mov_b32_e32 v16, 0
	v_mov_b32_e32 v17, 0
.LBB8_91:                               ;   in Loop: Header=BB8_53 Depth=1
	s_mov_b64 s[4:5], s[14:15]
	s_mov_b32 s18, 0
	s_cbranch_execnz .LBB8_93
.LBB8_92:                               ;   in Loop: Header=BB8_53 Depth=1
	global_load_dwordx2 v[16:17], v26, s[14:15]
	s_add_i32 s18, s19, -8
.LBB8_93:                               ;   in Loop: Header=BB8_53 Depth=1
	s_add_u32 s14, s4, 8
	s_addc_u32 s15, s5, 0
	s_cmp_gt_u32 s18, 7
	s_cbranch_scc1 .LBB8_97
; %bb.94:                               ;   in Loop: Header=BB8_53 Depth=1
	s_cmp_eq_u32 s18, 0
	s_cbranch_scc1 .LBB8_98
; %bb.95:                               ;   in Loop: Header=BB8_53 Depth=1
	v_mov_b32_e32 v18, 0
	s_mov_b64 s[14:15], 0
	v_mov_b32_e32 v19, 0
	s_mov_b64 s[16:17], 0
.LBB8_96:                               ;   Parent Loop BB8_53 Depth=1
                                        ; =>  This Inner Loop Header: Depth=2
	s_add_u32 s20, s4, s16
	s_addc_u32 s21, s5, s17
	global_load_ubyte v2, v26, s[20:21]
	s_add_u32 s16, s16, 1
	s_addc_u32 s17, s17, 0
	s_waitcnt vmcnt(0)
	v_and_b32_e32 v25, 0xffff, v2
	v_lshlrev_b64 v[2:3], s14, v[25:26]
	s_add_u32 s14, s14, 8
	s_addc_u32 s15, s15, 0
	v_or_b32_e32 v18, v2, v18
	s_cmp_lg_u32 s18, s16
	v_or_b32_e32 v19, v3, v19
	s_cbranch_scc1 .LBB8_96
	s_branch .LBB8_99
.LBB8_97:                               ;   in Loop: Header=BB8_53 Depth=1
                                        ; implicit-def: $vgpr18_vgpr19
	s_mov_b32 s19, 0
	s_branch .LBB8_100
.LBB8_98:                               ;   in Loop: Header=BB8_53 Depth=1
	v_mov_b32_e32 v18, 0
	v_mov_b32_e32 v19, 0
.LBB8_99:                               ;   in Loop: Header=BB8_53 Depth=1
	s_mov_b64 s[14:15], s[4:5]
	s_mov_b32 s19, 0
	s_cbranch_execnz .LBB8_101
.LBB8_100:                              ;   in Loop: Header=BB8_53 Depth=1
	global_load_dwordx2 v[18:19], v26, s[4:5]
	s_add_i32 s19, s18, -8
.LBB8_101:                              ;   in Loop: Header=BB8_53 Depth=1
	s_cmp_gt_u32 s19, 7
	s_cbranch_scc1 .LBB8_105
; %bb.102:                              ;   in Loop: Header=BB8_53 Depth=1
	s_cmp_eq_u32 s19, 0
	s_cbranch_scc1 .LBB8_106
; %bb.103:                              ;   in Loop: Header=BB8_53 Depth=1
	v_mov_b32_e32 v20, 0
	s_mov_b64 s[4:5], 0
	v_mov_b32_e32 v21, 0
	s_mov_b64 s[16:17], s[14:15]
.LBB8_104:                              ;   Parent Loop BB8_53 Depth=1
                                        ; =>  This Inner Loop Header: Depth=2
	global_load_ubyte v2, v26, s[16:17]
	s_add_i32 s19, s19, -1
	s_waitcnt vmcnt(0)
	v_and_b32_e32 v25, 0xffff, v2
	v_lshlrev_b64 v[2:3], s4, v[25:26]
	s_add_u32 s4, s4, 8
	s_addc_u32 s5, s5, 0
	s_add_u32 s16, s16, 1
	s_addc_u32 s17, s17, 0
	v_or_b32_e32 v20, v2, v20
	s_cmp_lg_u32 s19, 0
	v_or_b32_e32 v21, v3, v21
	s_cbranch_scc1 .LBB8_104
	s_branch .LBB8_107
.LBB8_105:                              ;   in Loop: Header=BB8_53 Depth=1
	s_branch .LBB8_108
.LBB8_106:                              ;   in Loop: Header=BB8_53 Depth=1
	v_mov_b32_e32 v20, 0
	v_mov_b32_e32 v21, 0
.LBB8_107:                              ;   in Loop: Header=BB8_53 Depth=1
	s_cbranch_execnz .LBB8_109
.LBB8_108:                              ;   in Loop: Header=BB8_53 Depth=1
	global_load_dwordx2 v[20:21], v26, s[14:15]
.LBB8_109:                              ;   in Loop: Header=BB8_53 Depth=1
	v_readfirstlane_b32 s4, v30
	v_mov_b32_e32 v2, 0
	v_mov_b32_e32 v3, 0
	v_cmp_eq_u32_e64 s[4:5], s4, v30
	s_and_saveexec_b64 s[14:15], s[4:5]
	s_cbranch_execz .LBB8_115
; %bb.110:                              ;   in Loop: Header=BB8_53 Depth=1
	global_load_dwordx2 v[24:25], v26, s[6:7] offset:24 glc
	s_waitcnt vmcnt(0)
	buffer_wbinvl1_vol
	global_load_dwordx2 v[2:3], v26, s[6:7] offset:40
	global_load_dwordx2 v[22:23], v26, s[6:7]
	s_waitcnt vmcnt(1)
	v_and_b32_e32 v2, v2, v24
	v_and_b32_e32 v3, v3, v25
	v_mul_lo_u32 v3, v3, 24
	v_mul_hi_u32 v27, v2, 24
	v_mul_lo_u32 v2, v2, 24
	v_add_u32_e32 v3, v27, v3
	s_waitcnt vmcnt(0)
	v_add_co_u32_e32 v2, vcc, v22, v2
	v_addc_co_u32_e32 v3, vcc, v23, v3, vcc
	global_load_dwordx2 v[22:23], v[2:3], off glc
	s_waitcnt vmcnt(0)
	global_atomic_cmpswap_x2 v[2:3], v26, v[22:25], s[6:7] offset:24 glc
	s_waitcnt vmcnt(0)
	buffer_wbinvl1_vol
	v_cmp_ne_u64_e32 vcc, v[2:3], v[24:25]
	s_and_saveexec_b64 s[16:17], vcc
	s_cbranch_execz .LBB8_114
; %bb.111:                              ;   in Loop: Header=BB8_53 Depth=1
	s_mov_b64 s[18:19], 0
.LBB8_112:                              ;   Parent Loop BB8_53 Depth=1
                                        ; =>  This Inner Loop Header: Depth=2
	s_sleep 1
	global_load_dwordx2 v[22:23], v26, s[6:7] offset:40
	global_load_dwordx2 v[27:28], v26, s[6:7]
	v_mov_b32_e32 v25, v3
	v_mov_b32_e32 v24, v2
	s_waitcnt vmcnt(1)
	v_and_b32_e32 v2, v22, v24
	s_waitcnt vmcnt(0)
	v_mad_u64_u32 v[2:3], s[20:21], v2, 24, v[27:28]
	v_and_b32_e32 v22, v23, v25
	v_mad_u64_u32 v[22:23], s[20:21], v22, 24, v[3:4]
	v_mov_b32_e32 v3, v22
	global_load_dwordx2 v[22:23], v[2:3], off glc
	s_waitcnt vmcnt(0)
	global_atomic_cmpswap_x2 v[2:3], v26, v[22:25], s[6:7] offset:24 glc
	s_waitcnt vmcnt(0)
	buffer_wbinvl1_vol
	v_cmp_eq_u64_e32 vcc, v[2:3], v[24:25]
	s_or_b64 s[18:19], vcc, s[18:19]
	s_andn2_b64 exec, exec, s[18:19]
	s_cbranch_execnz .LBB8_112
; %bb.113:                              ;   in Loop: Header=BB8_53 Depth=1
	s_or_b64 exec, exec, s[18:19]
.LBB8_114:                              ;   in Loop: Header=BB8_53 Depth=1
	s_or_b64 exec, exec, s[16:17]
.LBB8_115:                              ;   in Loop: Header=BB8_53 Depth=1
	s_or_b64 exec, exec, s[14:15]
	global_load_dwordx2 v[27:28], v26, s[6:7] offset:40
	global_load_dwordx4 v[22:25], v26, s[6:7]
	v_readfirstlane_b32 s15, v3
	v_readfirstlane_b32 s14, v2
	s_mov_b64 s[16:17], exec
	s_waitcnt vmcnt(1)
	v_readfirstlane_b32 s18, v27
	v_readfirstlane_b32 s19, v28
	s_and_b64 s[18:19], s[18:19], s[14:15]
	s_mul_i32 s20, s19, 24
	s_mul_hi_u32 s21, s18, 24
	s_mul_i32 s22, s18, 24
	s_add_i32 s20, s21, s20
	v_mov_b32_e32 v2, s20
	s_waitcnt vmcnt(0)
	v_add_co_u32_e32 v27, vcc, s22, v22
	v_addc_co_u32_e32 v28, vcc, v23, v2, vcc
	s_and_saveexec_b64 s[20:21], s[4:5]
	s_cbranch_execz .LBB8_117
; %bb.116:                              ;   in Loop: Header=BB8_53 Depth=1
	v_mov_b32_e32 v2, s16
	v_mov_b32_e32 v3, s17
	global_store_dwordx4 v[27:28], v[2:5], off offset:8
.LBB8_117:                              ;   in Loop: Header=BB8_53 Depth=1
	s_or_b64 exec, exec, s[20:21]
	s_lshl_b64 s[16:17], s[18:19], 12
	v_cmp_gt_u64_e64 s[18:19], s[10:11], 56
	v_mov_b32_e32 v2, s17
	v_add_co_u32_e32 v24, vcc, s16, v24
	s_and_b64 s[16:17], s[18:19], exec
	s_cselect_b32 s16, 0, 2
	s_lshl_b32 s17, s12, 2
	v_addc_co_u32_e32 v31, vcc, v25, v2, vcc
	s_add_i32 s17, s17, 28
	v_and_b32_e32 v2, 0xffffff1f, v6
	s_and_b32 s17, s17, 0x1e0
	v_or_b32_e32 v2, s16, v2
	v_or_b32_e32 v6, s17, v2
	v_readfirstlane_b32 s16, v24
	v_readfirstlane_b32 s17, v31
	s_nop 4
	global_store_dwordx4 v29, v[6:9], s[16:17]
	global_store_dwordx4 v29, v[10:13], s[16:17] offset:16
	global_store_dwordx4 v29, v[14:17], s[16:17] offset:32
	;; [unrolled: 1-line block ×3, first 2 shown]
	s_and_saveexec_b64 s[16:17], s[4:5]
	s_cbranch_execz .LBB8_125
; %bb.118:                              ;   in Loop: Header=BB8_53 Depth=1
	global_load_dwordx2 v[10:11], v26, s[6:7] offset:32 glc
	global_load_dwordx2 v[2:3], v26, s[6:7] offset:40
	v_mov_b32_e32 v8, s14
	v_mov_b32_e32 v9, s15
	s_waitcnt vmcnt(0)
	v_readfirstlane_b32 s18, v2
	v_readfirstlane_b32 s19, v3
	s_and_b64 s[18:19], s[18:19], s[14:15]
	s_mul_i32 s19, s19, 24
	s_mul_hi_u32 s20, s18, 24
	s_mul_i32 s18, s18, 24
	s_add_i32 s19, s20, s19
	v_mov_b32_e32 v3, s19
	v_add_co_u32_e32 v2, vcc, s18, v22
	v_addc_co_u32_e32 v3, vcc, v23, v3, vcc
	global_store_dwordx2 v[2:3], v[10:11], off
	s_waitcnt vmcnt(0)
	global_atomic_cmpswap_x2 v[8:9], v26, v[8:11], s[6:7] offset:32 glc
	s_waitcnt vmcnt(0)
	v_cmp_ne_u64_e32 vcc, v[8:9], v[10:11]
	s_and_saveexec_b64 s[18:19], vcc
	s_cbranch_execz .LBB8_121
; %bb.119:                              ;   in Loop: Header=BB8_53 Depth=1
	s_mov_b64 s[20:21], 0
.LBB8_120:                              ;   Parent Loop BB8_53 Depth=1
                                        ; =>  This Inner Loop Header: Depth=2
	s_sleep 1
	global_store_dwordx2 v[2:3], v[8:9], off
	v_mov_b32_e32 v6, s14
	v_mov_b32_e32 v7, s15
	s_waitcnt vmcnt(0)
	global_atomic_cmpswap_x2 v[6:7], v26, v[6:9], s[6:7] offset:32 glc
	s_waitcnt vmcnt(0)
	v_cmp_eq_u64_e32 vcc, v[6:7], v[8:9]
	v_mov_b32_e32 v9, v7
	s_or_b64 s[20:21], vcc, s[20:21]
	v_mov_b32_e32 v8, v6
	s_andn2_b64 exec, exec, s[20:21]
	s_cbranch_execnz .LBB8_120
.LBB8_121:                              ;   in Loop: Header=BB8_53 Depth=1
	s_or_b64 exec, exec, s[18:19]
	global_load_dwordx2 v[2:3], v26, s[6:7] offset:16
	s_mov_b64 s[20:21], exec
	v_mbcnt_lo_u32_b32 v6, s20, 0
	v_mbcnt_hi_u32_b32 v6, s21, v6
	v_cmp_eq_u32_e32 vcc, 0, v6
	s_and_saveexec_b64 s[18:19], vcc
	s_cbranch_execz .LBB8_123
; %bb.122:                              ;   in Loop: Header=BB8_53 Depth=1
	s_bcnt1_i32_b64 s20, s[20:21]
	v_mov_b32_e32 v25, s20
	s_waitcnt vmcnt(0)
	global_atomic_add_x2 v[2:3], v[25:26], off offset:8
.LBB8_123:                              ;   in Loop: Header=BB8_53 Depth=1
	s_or_b64 exec, exec, s[18:19]
	s_waitcnt vmcnt(0)
	global_load_dwordx2 v[6:7], v[2:3], off offset:16
	s_waitcnt vmcnt(0)
	v_cmp_eq_u64_e32 vcc, 0, v[6:7]
	s_cbranch_vccnz .LBB8_125
; %bb.124:                              ;   in Loop: Header=BB8_53 Depth=1
	global_load_dword v25, v[2:3], off offset:24
	s_waitcnt vmcnt(0)
	v_readfirstlane_b32 s18, v25
	s_and_b32 m0, s18, 0xffffff
	global_store_dwordx2 v[6:7], v[25:26], off
	s_sendmsg sendmsg(MSG_INTERRUPT)
.LBB8_125:                              ;   in Loop: Header=BB8_53 Depth=1
	s_or_b64 exec, exec, s[16:17]
	v_add_co_u32_e32 v2, vcc, v24, v29
	v_addc_co_u32_e32 v3, vcc, 0, v31, vcc
	s_branch .LBB8_129
.LBB8_126:                              ;   in Loop: Header=BB8_129 Depth=2
	s_or_b64 exec, exec, s[16:17]
	v_readfirstlane_b32 s16, v6
	s_cmp_eq_u32 s16, 0
	s_cbranch_scc1 .LBB8_128
; %bb.127:                              ;   in Loop: Header=BB8_129 Depth=2
	s_sleep 1
	s_cbranch_execnz .LBB8_129
	s_branch .LBB8_131
.LBB8_128:                              ;   in Loop: Header=BB8_53 Depth=1
	s_branch .LBB8_131
.LBB8_129:                              ;   Parent Loop BB8_53 Depth=1
                                        ; =>  This Inner Loop Header: Depth=2
	v_mov_b32_e32 v6, 1
	s_and_saveexec_b64 s[16:17], s[4:5]
	s_cbranch_execz .LBB8_126
; %bb.130:                              ;   in Loop: Header=BB8_129 Depth=2
	global_load_dword v6, v[27:28], off offset:20 glc
	s_waitcnt vmcnt(0)
	buffer_wbinvl1_vol
	v_and_b32_e32 v6, 1, v6
	s_branch .LBB8_126
.LBB8_131:                              ;   in Loop: Header=BB8_53 Depth=1
	global_load_dwordx4 v[6:9], v[2:3], off
	s_and_saveexec_b64 s[16:17], s[4:5]
	s_cbranch_execz .LBB8_52
; %bb.132:                              ;   in Loop: Header=BB8_53 Depth=1
	global_load_dwordx2 v[2:3], v26, s[6:7] offset:40
	global_load_dwordx2 v[12:13], v26, s[6:7] offset:24 glc
	global_load_dwordx2 v[8:9], v26, s[6:7]
	s_waitcnt vmcnt(2)
	v_readfirstlane_b32 s18, v2
	v_readfirstlane_b32 s19, v3
	s_add_u32 s20, s18, 1
	s_addc_u32 s21, s19, 0
	s_add_u32 s4, s20, s14
	s_addc_u32 s5, s21, s15
	s_cmp_eq_u64 s[4:5], 0
	s_cselect_b32 s5, s21, s5
	s_cselect_b32 s4, s20, s4
	s_and_b64 s[14:15], s[4:5], s[18:19]
	s_mul_i32 s15, s15, 24
	s_mul_hi_u32 s18, s14, 24
	s_mul_i32 s14, s14, 24
	s_add_i32 s15, s18, s15
	v_mov_b32_e32 v3, s15
	s_waitcnt vmcnt(0)
	v_add_co_u32_e32 v2, vcc, s14, v8
	v_addc_co_u32_e32 v3, vcc, v9, v3, vcc
	v_mov_b32_e32 v10, s4
	global_store_dwordx2 v[2:3], v[12:13], off
	v_mov_b32_e32 v11, s5
	s_waitcnt vmcnt(0)
	global_atomic_cmpswap_x2 v[10:11], v26, v[10:13], s[6:7] offset:24 glc
	s_waitcnt vmcnt(0)
	v_cmp_ne_u64_e32 vcc, v[10:11], v[12:13]
	s_and_b64 exec, exec, vcc
	s_cbranch_execz .LBB8_52
; %bb.133:                              ;   in Loop: Header=BB8_53 Depth=1
	s_mov_b64 s[14:15], 0
.LBB8_134:                              ;   Parent Loop BB8_53 Depth=1
                                        ; =>  This Inner Loop Header: Depth=2
	s_sleep 1
	global_store_dwordx2 v[2:3], v[10:11], off
	v_mov_b32_e32 v8, s4
	v_mov_b32_e32 v9, s5
	s_waitcnt vmcnt(0)
	global_atomic_cmpswap_x2 v[8:9], v26, v[8:11], s[6:7] offset:24 glc
	s_waitcnt vmcnt(0)
	v_cmp_eq_u64_e32 vcc, v[8:9], v[10:11]
	v_mov_b32_e32 v11, v9
	s_or_b64 s[14:15], vcc, s[14:15]
	v_mov_b32_e32 v10, v8
	s_andn2_b64 exec, exec, s[14:15]
	s_cbranch_execnz .LBB8_134
	s_branch .LBB8_52
.LBB8_135:
	s_mov_b64 s[4:5], 0
	s_branch .LBB8_137
.LBB8_136:
	s_mov_b64 s[4:5], -1
.LBB8_137:
	s_and_b64 vcc, exec, s[4:5]
	s_cbranch_vccz .LBB8_164
; %bb.138:
	v_readfirstlane_b32 s4, v30
	s_waitcnt vmcnt(0)
	v_mov_b32_e32 v8, 0
	v_mov_b32_e32 v9, 0
	v_cmp_eq_u32_e64 s[4:5], s4, v30
	s_and_saveexec_b64 s[8:9], s[4:5]
	s_cbranch_execz .LBB8_144
; %bb.139:
	v_mov_b32_e32 v2, 0
	global_load_dwordx2 v[5:6], v2, s[6:7] offset:24 glc
	s_waitcnt vmcnt(0)
	buffer_wbinvl1_vol
	global_load_dwordx2 v[3:4], v2, s[6:7] offset:40
	global_load_dwordx2 v[7:8], v2, s[6:7]
	s_waitcnt vmcnt(1)
	v_and_b32_e32 v3, v3, v5
	v_and_b32_e32 v4, v4, v6
	v_mul_lo_u32 v4, v4, 24
	v_mul_hi_u32 v9, v3, 24
	v_mul_lo_u32 v3, v3, 24
	v_add_u32_e32 v4, v9, v4
	s_waitcnt vmcnt(0)
	v_add_co_u32_e32 v3, vcc, v7, v3
	v_addc_co_u32_e32 v4, vcc, v8, v4, vcc
	global_load_dwordx2 v[3:4], v[3:4], off glc
	s_waitcnt vmcnt(0)
	global_atomic_cmpswap_x2 v[8:9], v2, v[3:6], s[6:7] offset:24 glc
	s_waitcnt vmcnt(0)
	buffer_wbinvl1_vol
	v_cmp_ne_u64_e32 vcc, v[8:9], v[5:6]
	s_and_saveexec_b64 s[10:11], vcc
	s_cbranch_execz .LBB8_143
; %bb.140:
	s_mov_b64 s[12:13], 0
.LBB8_141:                              ; =>This Inner Loop Header: Depth=1
	s_sleep 1
	global_load_dwordx2 v[3:4], v2, s[6:7] offset:40
	global_load_dwordx2 v[10:11], v2, s[6:7]
	v_mov_b32_e32 v5, v8
	v_mov_b32_e32 v6, v9
	s_waitcnt vmcnt(1)
	v_and_b32_e32 v3, v3, v5
	s_waitcnt vmcnt(0)
	v_mad_u64_u32 v[7:8], s[14:15], v3, 24, v[10:11]
	v_and_b32_e32 v4, v4, v6
	v_mov_b32_e32 v3, v8
	v_mad_u64_u32 v[3:4], s[14:15], v4, 24, v[3:4]
	v_mov_b32_e32 v8, v3
	global_load_dwordx2 v[3:4], v[7:8], off glc
	s_waitcnt vmcnt(0)
	global_atomic_cmpswap_x2 v[8:9], v2, v[3:6], s[6:7] offset:24 glc
	s_waitcnt vmcnt(0)
	buffer_wbinvl1_vol
	v_cmp_eq_u64_e32 vcc, v[8:9], v[5:6]
	s_or_b64 s[12:13], vcc, s[12:13]
	s_andn2_b64 exec, exec, s[12:13]
	s_cbranch_execnz .LBB8_141
; %bb.142:
	s_or_b64 exec, exec, s[12:13]
.LBB8_143:
	s_or_b64 exec, exec, s[10:11]
.LBB8_144:
	s_or_b64 exec, exec, s[8:9]
	v_mov_b32_e32 v2, 0
	global_load_dwordx2 v[10:11], v2, s[6:7] offset:40
	global_load_dwordx4 v[4:7], v2, s[6:7]
	v_readfirstlane_b32 s9, v9
	v_readfirstlane_b32 s8, v8
	s_mov_b64 s[10:11], exec
	s_waitcnt vmcnt(1)
	v_readfirstlane_b32 s12, v10
	v_readfirstlane_b32 s13, v11
	s_and_b64 s[12:13], s[12:13], s[8:9]
	s_mul_i32 s14, s13, 24
	s_mul_hi_u32 s15, s12, 24
	s_mul_i32 s16, s12, 24
	s_add_i32 s14, s15, s14
	v_mov_b32_e32 v3, s14
	s_waitcnt vmcnt(0)
	v_add_co_u32_e32 v8, vcc, s16, v4
	v_addc_co_u32_e32 v9, vcc, v5, v3, vcc
	s_and_saveexec_b64 s[14:15], s[4:5]
	s_cbranch_execz .LBB8_146
; %bb.145:
	v_mov_b32_e32 v10, s10
	v_mov_b32_e32 v11, s11
	;; [unrolled: 1-line block ×4, first 2 shown]
	global_store_dwordx4 v[8:9], v[10:13], off offset:8
.LBB8_146:
	s_or_b64 exec, exec, s[14:15]
	s_lshl_b64 s[10:11], s[12:13], 12
	v_mov_b32_e32 v3, s11
	v_add_co_u32_e32 v6, vcc, s10, v6
	v_addc_co_u32_e32 v7, vcc, v7, v3, vcc
	s_movk_i32 s10, 0xff1d
	v_and_or_b32 v0, v0, s10, 34
	s_mov_b32 s12, 0
	v_mov_b32_e32 v3, v2
	v_readfirstlane_b32 s10, v6
	v_readfirstlane_b32 s11, v7
	s_mov_b32 s13, s12
	s_mov_b32 s14, s12
	;; [unrolled: 1-line block ×3, first 2 shown]
	s_nop 1
	global_store_dwordx4 v29, v[0:3], s[10:11]
	s_nop 0
	v_mov_b32_e32 v0, s12
	v_mov_b32_e32 v1, s13
	v_mov_b32_e32 v2, s14
	v_mov_b32_e32 v3, s15
	global_store_dwordx4 v29, v[0:3], s[10:11] offset:16
	global_store_dwordx4 v29, v[0:3], s[10:11] offset:32
	;; [unrolled: 1-line block ×3, first 2 shown]
	s_and_saveexec_b64 s[10:11], s[4:5]
	s_cbranch_execz .LBB8_154
; %bb.147:
	v_mov_b32_e32 v6, 0
	global_load_dwordx2 v[12:13], v6, s[6:7] offset:32 glc
	global_load_dwordx2 v[0:1], v6, s[6:7] offset:40
	v_mov_b32_e32 v10, s8
	v_mov_b32_e32 v11, s9
	s_waitcnt vmcnt(0)
	v_readfirstlane_b32 s12, v0
	v_readfirstlane_b32 s13, v1
	s_and_b64 s[12:13], s[12:13], s[8:9]
	s_mul_i32 s13, s13, 24
	s_mul_hi_u32 s14, s12, 24
	s_mul_i32 s12, s12, 24
	s_add_i32 s13, s14, s13
	v_mov_b32_e32 v0, s13
	v_add_co_u32_e32 v4, vcc, s12, v4
	v_addc_co_u32_e32 v5, vcc, v5, v0, vcc
	global_store_dwordx2 v[4:5], v[12:13], off
	s_waitcnt vmcnt(0)
	global_atomic_cmpswap_x2 v[2:3], v6, v[10:13], s[6:7] offset:32 glc
	s_waitcnt vmcnt(0)
	v_cmp_ne_u64_e32 vcc, v[2:3], v[12:13]
	s_and_saveexec_b64 s[12:13], vcc
	s_cbranch_execz .LBB8_150
; %bb.148:
	s_mov_b64 s[14:15], 0
.LBB8_149:                              ; =>This Inner Loop Header: Depth=1
	s_sleep 1
	global_store_dwordx2 v[4:5], v[2:3], off
	v_mov_b32_e32 v0, s8
	v_mov_b32_e32 v1, s9
	s_waitcnt vmcnt(0)
	global_atomic_cmpswap_x2 v[0:1], v6, v[0:3], s[6:7] offset:32 glc
	s_waitcnt vmcnt(0)
	v_cmp_eq_u64_e32 vcc, v[0:1], v[2:3]
	v_mov_b32_e32 v3, v1
	s_or_b64 s[14:15], vcc, s[14:15]
	v_mov_b32_e32 v2, v0
	s_andn2_b64 exec, exec, s[14:15]
	s_cbranch_execnz .LBB8_149
.LBB8_150:
	s_or_b64 exec, exec, s[12:13]
	v_mov_b32_e32 v3, 0
	global_load_dwordx2 v[0:1], v3, s[6:7] offset:16
	s_mov_b64 s[12:13], exec
	v_mbcnt_lo_u32_b32 v2, s12, 0
	v_mbcnt_hi_u32_b32 v2, s13, v2
	v_cmp_eq_u32_e32 vcc, 0, v2
	s_and_saveexec_b64 s[14:15], vcc
	s_cbranch_execz .LBB8_152
; %bb.151:
	s_bcnt1_i32_b64 s12, s[12:13]
	v_mov_b32_e32 v2, s12
	s_waitcnt vmcnt(0)
	global_atomic_add_x2 v[0:1], v[2:3], off offset:8
.LBB8_152:
	s_or_b64 exec, exec, s[14:15]
	s_waitcnt vmcnt(0)
	global_load_dwordx2 v[2:3], v[0:1], off offset:16
	s_waitcnt vmcnt(0)
	v_cmp_eq_u64_e32 vcc, 0, v[2:3]
	s_cbranch_vccnz .LBB8_154
; %bb.153:
	global_load_dword v0, v[0:1], off offset:24
	v_mov_b32_e32 v1, 0
	s_waitcnt vmcnt(0)
	v_readfirstlane_b32 s12, v0
	s_and_b32 m0, s12, 0xffffff
	global_store_dwordx2 v[2:3], v[0:1], off
	s_sendmsg sendmsg(MSG_INTERRUPT)
.LBB8_154:
	s_or_b64 exec, exec, s[10:11]
	s_branch .LBB8_158
.LBB8_155:                              ;   in Loop: Header=BB8_158 Depth=1
	s_or_b64 exec, exec, s[10:11]
	v_readfirstlane_b32 s10, v0
	s_cmp_eq_u32 s10, 0
	s_cbranch_scc1 .LBB8_157
; %bb.156:                              ;   in Loop: Header=BB8_158 Depth=1
	s_sleep 1
	s_cbranch_execnz .LBB8_158
	s_branch .LBB8_160
.LBB8_157:
	s_branch .LBB8_160
.LBB8_158:                              ; =>This Inner Loop Header: Depth=1
	v_mov_b32_e32 v0, 1
	s_and_saveexec_b64 s[10:11], s[4:5]
	s_cbranch_execz .LBB8_155
; %bb.159:                              ;   in Loop: Header=BB8_158 Depth=1
	global_load_dword v0, v[8:9], off offset:20 glc
	s_waitcnt vmcnt(0)
	buffer_wbinvl1_vol
	v_and_b32_e32 v0, 1, v0
	s_branch .LBB8_155
.LBB8_160:
	s_and_saveexec_b64 s[10:11], s[4:5]
	s_cbranch_execz .LBB8_163
; %bb.161:
	v_mov_b32_e32 v6, 0
	global_load_dwordx2 v[0:1], v6, s[6:7] offset:40
	global_load_dwordx2 v[9:10], v6, s[6:7] offset:24 glc
	global_load_dwordx2 v[2:3], v6, s[6:7]
	s_waitcnt vmcnt(2)
	v_readfirstlane_b32 s12, v0
	v_readfirstlane_b32 s13, v1
	s_add_u32 s14, s12, 1
	s_addc_u32 s15, s13, 0
	s_add_u32 s4, s14, s8
	s_addc_u32 s5, s15, s9
	s_cmp_eq_u64 s[4:5], 0
	s_cselect_b32 s5, s15, s5
	s_cselect_b32 s4, s14, s4
	s_and_b64 s[8:9], s[4:5], s[12:13]
	s_mul_i32 s9, s9, 24
	s_mul_hi_u32 s12, s8, 24
	s_mul_i32 s8, s8, 24
	s_add_i32 s9, s12, s9
	v_mov_b32_e32 v0, s9
	s_waitcnt vmcnt(0)
	v_add_co_u32_e32 v4, vcc, s8, v2
	v_addc_co_u32_e32 v5, vcc, v3, v0, vcc
	v_mov_b32_e32 v7, s4
	global_store_dwordx2 v[4:5], v[9:10], off
	v_mov_b32_e32 v8, s5
	s_waitcnt vmcnt(0)
	global_atomic_cmpswap_x2 v[2:3], v6, v[7:10], s[6:7] offset:24 glc
	s_mov_b64 s[8:9], 0
	s_waitcnt vmcnt(0)
	v_cmp_ne_u64_e32 vcc, v[2:3], v[9:10]
	s_and_b64 exec, exec, vcc
	s_cbranch_execz .LBB8_163
.LBB8_162:                              ; =>This Inner Loop Header: Depth=1
	s_sleep 1
	global_store_dwordx2 v[4:5], v[2:3], off
	v_mov_b32_e32 v0, s4
	v_mov_b32_e32 v1, s5
	s_waitcnt vmcnt(0)
	global_atomic_cmpswap_x2 v[0:1], v6, v[0:3], s[6:7] offset:24 glc
	s_waitcnt vmcnt(0)
	v_cmp_eq_u64_e32 vcc, v[0:1], v[2:3]
	v_mov_b32_e32 v3, v1
	s_or_b64 s[8:9], vcc, s[8:9]
	v_mov_b32_e32 v2, v0
	s_andn2_b64 exec, exec, s[8:9]
	s_cbranch_execnz .LBB8_162
.LBB8_163:
	s_or_b64 exec, exec, s[10:11]
.LBB8_164:
	s_add_u32 s8, s44, 0x58
	s_addc_u32 s9, s45, 0
	s_getpc_b64 s[4:5]
	s_add_u32 s4, s4, .str.29@rel32@lo+4
	s_addc_u32 s5, s5, .str.29@rel32@hi+12
	s_getpc_b64 s[6:7]
	s_add_u32 s6, s6, .str.19@rel32@lo+4
	s_addc_u32 s7, s7, .str.19@rel32@hi+12
	s_getpc_b64 s[10:11]
	s_add_u32 s10, s10, __PRETTY_FUNCTION__._ZN7VecsMemIjLi8192EE5fetchEi@rel32@lo+4
	s_addc_u32 s11, s11, __PRETTY_FUNCTION__._ZN7VecsMemIjLi8192EE5fetchEi@rel32@hi+12
	s_getpc_b64 s[12:13]
	s_add_u32 s12, s12, __assert_fail@rel32@lo+4
	s_addc_u32 s13, s13, __assert_fail@rel32@hi+12
	s_waitcnt vmcnt(0)
	v_mov_b32_e32 v0, s4
	v_mov_b32_e32 v1, s5
	;; [unrolled: 1-line block ×7, first 2 shown]
	s_swappc_b64 s[30:31], s[12:13]
	s_or_b64 s[4:5], s[76:77], exec
.LBB8_165:
	s_or_b64 exec, exec, s[38:39]
	s_andn2_b64 s[6:7], s[76:77], exec
	s_and_b64 s[4:5], s[4:5], exec
	s_or_b64 s[38:39], s[6:7], s[4:5]
	s_orn2_b64 s[4:5], s[36:37], exec
.LBB8_166:
	s_or_b64 exec, exec, s[34:35]
	s_mov_b64 s[6:7], 0
	s_and_saveexec_b64 s[34:35], s[4:5]
	s_cbranch_execz .LBB8_179
; %bb.167:
	v_cmp_ne_u32_e32 vcc, -1, v44
	s_mov_b64 s[40:41], 0
	s_mov_b64 s[42:43], s[38:39]
	s_and_saveexec_b64 s[4:5], vcc
	s_xor_b64 s[36:37], exec, s[4:5]
	s_cbranch_execz .LBB8_176
; %bb.168:
	v_cmp_lt_i32_e32 vcc, 0, v42
	s_and_saveexec_b64 s[4:5], vcc
	s_cbranch_execz .LBB8_173
; %bb.169:
	buffer_load_dword v0, off, s[0:3], 0 offset:16
	buffer_load_dword v1, off, s[0:3], 0 offset:20
	v_mov_b32_e32 v2, v42
	v_mov_b32_e32 v3, v44
.LBB8_170:                              ; =>This Inner Loop Header: Depth=1
	s_waitcnt vmcnt(0)
	flat_load_dword v4, v[0:1]
	v_add_co_u32_e32 v0, vcc, 4, v0
	v_add_u32_e32 v2, -1, v2
	v_addc_co_u32_e32 v1, vcc, 0, v1, vcc
	v_cmp_eq_u32_e32 vcc, 0, v2
	s_or_b64 s[6:7], vcc, s[6:7]
	s_waitcnt vmcnt(0) lgkmcnt(0)
	buffer_store_dword v4, v3, s[0:3], 0 offen
	v_add_u32_e32 v3, 4, v3
	s_andn2_b64 exec, exec, s[6:7]
	s_cbranch_execnz .LBB8_170
; %bb.171:
	s_or_b64 exec, exec, s[6:7]
	s_mov_b32 s8, 28
	s_mov_b64 s[6:7], 0
	v_mov_b32_e32 v0, v42
.LBB8_172:                              ; =>This Inner Loop Header: Depth=1
	buffer_load_dword v1, v44, s[0:3], 0 offen
	v_add_u32_e32 v0, -1, v0
	v_mov_b32_e32 v2, s8
	s_add_i32 s8, s8, 4
	v_cmp_eq_u32_e32 vcc, 0, v0
	v_add_u32_e32 v44, 4, v44
	s_or_b64 s[6:7], vcc, s[6:7]
	s_waitcnt vmcnt(0)
	buffer_store_dword v1, v2, s[0:3], 0 offen
	s_andn2_b64 exec, exec, s[6:7]
	s_cbranch_execnz .LBB8_172
.LBB8_173:
	s_or_b64 exec, exec, s[4:5]
	buffer_load_dword v0, off, s[0:3], 0 offset:24
	s_mov_b64 s[4:5], -1
	s_mov_b64 s[6:7], s[38:39]
	s_waitcnt vmcnt(0)
	v_cmp_lt_i32_e32 vcc, v0, v42
	s_and_saveexec_b64 s[8:9], vcc
	s_xor_b64 s[40:41], exec, s[8:9]
	s_cbranch_execz .LBB8_175
; %bb.174:
	s_add_u32 s8, s44, 0x58
	s_addc_u32 s9, s45, 0
	s_getpc_b64 s[4:5]
	s_add_u32 s4, s4, .str.18@rel32@lo+4
	s_addc_u32 s5, s5, .str.18@rel32@hi+12
	s_getpc_b64 s[6:7]
	s_add_u32 s6, s6, .str.19@rel32@lo+4
	s_addc_u32 s7, s7, .str.19@rel32@hi+12
	s_getpc_b64 s[10:11]
	s_add_u32 s10, s10, __PRETTY_FUNCTION__._ZN7VecsMemIjLi8192EE6shrinkEi@rel32@lo+4
	s_addc_u32 s11, s11, __PRETTY_FUNCTION__._ZN7VecsMemIjLi8192EE6shrinkEi@rel32@hi+12
	s_getpc_b64 s[12:13]
	s_add_u32 s12, s12, __assert_fail@rel32@lo+4
	s_addc_u32 s13, s13, __assert_fail@rel32@hi+12
	v_mov_b32_e32 v0, s4
	v_mov_b32_e32 v1, s5
	;; [unrolled: 1-line block ×7, first 2 shown]
	s_swappc_b64 s[30:31], s[12:13]
	s_or_b64 s[6:7], s[38:39], exec
	s_xor_b64 s[4:5], exec, -1
.LBB8_175:
	s_or_b64 exec, exec, s[40:41]
	s_andn2_b64 s[8:9], s[38:39], exec
	s_and_b64 s[6:7], s[6:7], exec
	s_or_b64 s[42:43], s[8:9], s[6:7]
	s_and_b64 s[40:41], s[4:5], exec
.LBB8_176:
	s_andn2_saveexec_b64 s[36:37], s[36:37]
	s_cbranch_execz .LBB8_178
; %bb.177:
	s_add_u32 s8, s44, 0x58
	s_addc_u32 s9, s45, 0
	s_getpc_b64 s[4:5]
	s_add_u32 s4, s4, .str.17@rel32@lo+4
	s_addc_u32 s5, s5, .str.17@rel32@hi+12
	s_getpc_b64 s[6:7]
	s_add_u32 s6, s6, .str.16@rel32@lo+4
	s_addc_u32 s7, s7, .str.16@rel32@hi+12
	s_getpc_b64 s[10:11]
	s_add_u32 s10, s10, __PRETTY_FUNCTION__._ZN3sop10minatoIsopEPKjiP7VecsMemIjLi8192EE@rel32@lo+4
	s_addc_u32 s11, s11, __PRETTY_FUNCTION__._ZN3sop10minatoIsopEPKjiP7VecsMemIjLi8192EE@rel32@hi+12
	s_getpc_b64 s[12:13]
	s_add_u32 s12, s12, __assert_fail@rel32@lo+4
	s_addc_u32 s13, s13, __assert_fail@rel32@hi+12
	v_mov_b32_e32 v0, s4
	v_mov_b32_e32 v1, s5
	;; [unrolled: 1-line block ×7, first 2 shown]
	s_swappc_b64 s[30:31], s[12:13]
	s_or_b64 s[42:43], s[42:43], exec
.LBB8_178:
	s_or_b64 exec, exec, s[36:37]
	s_andn2_b64 s[4:5], s[38:39], exec
	s_and_b64 s[6:7], s[42:43], exec
	s_or_b64 s[38:39], s[4:5], s[6:7]
	s_and_b64 s[6:7], s[40:41], exec
.LBB8_179:
	s_or_b64 exec, exec, s[34:35]
	s_andn2_b64 s[4:5], s[76:77], exec
	s_and_b64 s[8:9], s[38:39], exec
	s_or_b64 s[68:69], s[4:5], s[8:9]
	s_and_b64 s[4:5], s[6:7], exec
	s_andn2_b64 s[26:27], s[26:27], exec
.LBB8_180:
	s_or_b64 exec, exec, s[28:29]
	s_and_saveexec_b64 s[6:7], s[26:27]
	s_cbranch_execz .LBB8_182
; %bb.181:
	buffer_load_dword v0, off, s[0:3], 0 offset:24
	s_andn2_b64 s[4:5], s[4:5], exec
	s_mov_b64 s[66:67], exec
	v_mov_b32_e32 v1, 0
	buffer_store_dword v1, off, s[0:3], 0 offset:28
	s_waitcnt vmcnt(1)
	v_cmp_ge_i32_e32 vcc, v0, v42
	s_and_b64 s[8:9], vcc, exec
	s_or_b64 s[4:5], s[4:5], s[8:9]
.LBB8_182:
	s_or_b64 exec, exec, s[6:7]
	s_mov_b64 s[6:7], 0
	s_mov_b64 s[8:9], 0
	;; [unrolled: 1-line block ×3, first 2 shown]
	s_and_saveexec_b64 s[70:71], s[4:5]
	s_cbranch_execz .LBB8_412
; %bb.183:
	v_cmp_lt_i32_e32 vcc, 15, v41
	s_mov_b64 s[72:73], s[68:69]
	buffer_store_dword v42, off, s[0:3], 0 offset:24
	s_waitcnt vmcnt(0)
	s_barrier
	s_and_saveexec_b64 s[4:5], vcc
	s_xor_b64 s[26:27], exec, s[4:5]
	s_cbranch_execz .LBB8_185
; %bb.184:
	s_add_u32 s8, s44, 0x58
	s_addc_u32 s9, s45, 0
	s_getpc_b64 s[4:5]
	s_add_u32 s4, s4, .str.30@rel32@lo+4
	s_addc_u32 s5, s5, .str.30@rel32@hi+12
	s_getpc_b64 s[6:7]
	s_add_u32 s6, s6, .str.31@rel32@lo+4
	s_addc_u32 s7, s7, .str.31@rel32@hi+12
	s_getpc_b64 s[10:11]
	s_add_u32 s10, s10, __PRETTY_FUNCTION__._ZN3sop9sopFactorEPjiiPKiiP7VecsMemIjLi8192EEPN8subgUtil4SubgILi256EEE@rel32@lo+4
	s_addc_u32 s11, s11, __PRETTY_FUNCTION__._ZN3sop9sopFactorEPjiiPKiiP7VecsMemIjLi8192EEPN8subgUtil4SubgILi256EEE@rel32@hi+12
	s_getpc_b64 s[12:13]
	s_add_u32 s12, s12, __assert_fail@rel32@lo+4
	s_addc_u32 s13, s13, __assert_fail@rel32@hi+12
	v_mov_b32_e32 v0, s4
	v_mov_b32_e32 v1, s5
	;; [unrolled: 1-line block ×7, first 2 shown]
	s_swappc_b64 s[30:31], s[12:13]
                                        ; implicit-def: $vgpr0
	s_mov_b32 s4, 0x220a00
	buffer_store_dword v0, off, s[0:3], s4  ; 4-byte Folded Spill
	s_nop 0
	buffer_store_dword v1, off, s[0:3], s4 offset:4 ; 4-byte Folded Spill
	s_or_b64 s[72:73], s[68:69], exec
                                        ; implicit-def: $vgpr0
	s_mov_b32 s4, 0x220c00
                                        ; implicit-def: $vgpr41
                                        ; implicit-def: $vgpr43
	buffer_store_dword v0, off, s[0:3], s4  ; 4-byte Folded Spill
	s_nop 0
	buffer_store_dword v1, off, s[0:3], s4 offset:4 ; 4-byte Folded Spill
.LBB8_185:
	s_or_saveexec_b64 s[74:75], s[26:27]
	s_mov_b64 s[4:5], 0
	s_mov_b64 s[6:7], 0
	;; [unrolled: 1-line block ×3, first 2 shown]
	s_xor_b64 exec, exec, s[74:75]
	s_cbranch_execz .LBB8_411
; %bb.186:
	buffer_load_dword v42, off, s[0:3], 0 offset:24
	v_mov_b32_e32 v0, 0x8020
	s_mov_b64 s[48:49], 0
	s_mov_b64 s[98:99], 0
	buffer_store_dword v41, v0, s[0:3], 0 offen
	s_waitcnt vmcnt(1)
	v_cmp_lt_i32_e32 vcc, 0, v42
	s_and_saveexec_b64 s[6:7], vcc
	s_xor_b64 s[6:7], exec, s[6:7]
	s_cbranch_execnz .LBB8_190
; %bb.187:
	s_andn2_saveexec_b64 s[6:7], s[6:7]
	s_cbranch_execnz .LBB8_199
.LBB8_188:
	s_or_b64 exec, exec, s[6:7]
	s_mov_b64 s[26:27], s[72:73]
	s_and_saveexec_b64 s[52:53], s[4:5]
	s_cbranch_execnz .LBB8_200
.LBB8_189:
	s_or_b64 exec, exec, s[52:53]
	s_and_saveexec_b64 s[4:5], s[48:49]
	s_cbranch_execnz .LBB8_377
	s_branch .LBB8_382
.LBB8_190:
	v_cmp_eq_u32_e32 vcc, 1, v42
	s_mov_b64 s[4:5], -1
	s_mov_b64 s[10:11], 0
	s_and_saveexec_b64 s[8:9], vcc
	s_cbranch_execz .LBB8_198
; %bb.191:
	buffer_load_dword v0, off, s[0:3], 0 offset:28
	s_waitcnt vmcnt(0)
	v_cmp_ne_u32_e32 vcc, 0, v0
	v_cmp_eq_u32_e64 s[4:5], 0, v0
	s_and_saveexec_b64 s[12:13], s[4:5]
	s_xor_b64 s[4:5], exec, s[12:13]
	s_cbranch_execz .LBB8_197
; %bb.192:
	v_add_u32_e32 v0, 1, v41
	v_mov_b32_e32 v1, 0x8020
	buffer_store_dword v0, v1, s[0:3], 0 offen
	v_mov_b32_e32 v0, 0x8020
	v_lshl_add_u32 v0, v41, 3, v0
	s_mov_b64 s[10:11], exec
	v_readlane_b32 s12, v45, 2
	v_readlane_b32 s13, v45, 3
	s_and_b64 s[12:13], s[10:11], s[12:13]
	s_xor_b64 s[10:11], s[12:13], s[10:11]
	s_mov_b64 exec, s[12:13]
	s_cbranch_execz .LBB8_194
; %bb.193:
	v_mov_b32_e32 v1, 0
	buffer_store_dword v1, v0, s[0:3], 0 offen offset:12
	buffer_store_dword v1, v0, s[0:3], 0 offen offset:8
                                        ; implicit-def: $vgpr0
.LBB8_194:
	s_andn2_saveexec_b64 s[10:11], s[10:11]
	s_cbranch_execz .LBB8_196
; %bb.195:
	v_mov_b32_e32 v1, 1
	buffer_store_dword v1, v0, s[0:3], 0 offen offset:12
	v_mov_b32_e32 v1, 3
	buffer_store_dword v1, v0, s[0:3], 0 offen offset:8
.LBB8_196:
	s_or_b64 exec, exec, s[10:11]
	s_mov_b64 s[10:11], exec
.LBB8_197:
	s_or_b64 exec, exec, s[4:5]
	s_and_b64 s[10:11], s[10:11], exec
	s_orn2_b64 s[4:5], vcc, exec
.LBB8_198:
	s_or_b64 exec, exec, s[8:9]
	s_and_b64 s[98:99], s[10:11], exec
	s_and_b64 s[4:5], s[4:5], exec
	s_andn2_saveexec_b64 s[6:7], s[6:7]
	s_cbranch_execz .LBB8_188
.LBB8_199:
	v_cmp_ne_u32_e32 vcc, 0, v42
	s_andn2_b64 s[4:5], s[4:5], exec
	s_and_b64 s[8:9], vcc, exec
	s_mov_b64 s[48:49], exec
	s_or_b64 s[4:5], s[4:5], s[8:9]
	s_or_b64 exec, exec, s[6:7]
	s_mov_b64 s[26:27], s[72:73]
	s_and_saveexec_b64 s[52:53], s[4:5]
	s_cbranch_execz .LBB8_189
.LBB8_200:
	v_mov_b32_e32 v0, 0
	v_cmp_lt_i32_e32 vcc, 0, v42
	s_mov_b64 s[4:5], -1
	v_mov_b32_e32 v44, -1
	s_mov_b64 s[10:11], s[72:73]
	buffer_store_dword v0, off, s[0:3], 0 offset:12
	s_and_saveexec_b64 s[26:27], vcc
	s_cbranch_execz .LBB8_352
; %bb.201:
	s_movk_i32 s4, 0x1001
	v_cmp_gt_u32_e32 vcc, s4, v42
	s_mov_b64 s[28:29], 0
	v_mov_b32_e32 v44, -1
	s_and_saveexec_b64 s[4:5], vcc
	s_xor_b64 s[4:5], exec, s[4:5]
	s_cbranch_execz .LBB8_203
; %bb.202:
	v_lshlrev_b32_e32 v0, 1, v42
	buffer_store_dword v0, off, s[0:3], 0 offset:24
	v_mov_b32_e32 v0, 24
	v_lshl_add_u32 v0, v42, 3, v0
	v_lshlrev_b32_e32 v1, 2, v42
	v_sub_u32_e32 v0, v0, v1
	s_mov_b64 s[28:29], exec
	v_add_u32_e32 v44, 4, v0
.LBB8_203:
	s_or_saveexec_b64 s[34:35], s[4:5]
	s_mov_b64 s[4:5], s[72:73]
	s_xor_b64 exec, exec, s[34:35]
	s_cbranch_execz .LBB8_351
; %bb.204:
	v_readlane_b32 s4, v45, 0
	v_readlane_b32 s5, v45, 1
	s_load_dwordx2 s[6:7], s[4:5], 0x50
	v_mbcnt_lo_u32_b32 v0, -1, 0
	v_mbcnt_hi_u32_b32 v30, -1, v0
	v_readfirstlane_b32 s4, v30
	v_mov_b32_e32 v5, 0
	v_mov_b32_e32 v6, 0
	v_cmp_eq_u32_e64 s[4:5], s4, v30
	s_and_saveexec_b64 s[8:9], s[4:5]
	s_cbranch_execz .LBB8_210
; %bb.205:
	v_mov_b32_e32 v0, 0
	s_waitcnt lgkmcnt(0)
	global_load_dwordx2 v[3:4], v0, s[6:7] offset:24 glc
	s_waitcnt vmcnt(0)
	buffer_wbinvl1_vol
	global_load_dwordx2 v[1:2], v0, s[6:7] offset:40
	global_load_dwordx2 v[5:6], v0, s[6:7]
	s_waitcnt vmcnt(1)
	v_and_b32_e32 v1, v1, v3
	v_and_b32_e32 v2, v2, v4
	v_mul_lo_u32 v2, v2, 24
	v_mul_hi_u32 v7, v1, 24
	v_mul_lo_u32 v1, v1, 24
	v_add_u32_e32 v2, v7, v2
	s_waitcnt vmcnt(0)
	v_add_co_u32_e32 v1, vcc, v5, v1
	v_addc_co_u32_e32 v2, vcc, v6, v2, vcc
	global_load_dwordx2 v[1:2], v[1:2], off glc
	s_waitcnt vmcnt(0)
	global_atomic_cmpswap_x2 v[5:6], v0, v[1:4], s[6:7] offset:24 glc
	s_waitcnt vmcnt(0)
	buffer_wbinvl1_vol
	v_cmp_ne_u64_e32 vcc, v[5:6], v[3:4]
	s_and_saveexec_b64 s[10:11], vcc
	s_cbranch_execz .LBB8_209
; %bb.206:
	s_mov_b64 s[12:13], 0
.LBB8_207:                              ; =>This Inner Loop Header: Depth=1
	s_sleep 1
	global_load_dwordx2 v[1:2], v0, s[6:7] offset:40
	global_load_dwordx2 v[7:8], v0, s[6:7]
	v_mov_b32_e32 v3, v5
	v_mov_b32_e32 v4, v6
	s_waitcnt vmcnt(1)
	v_and_b32_e32 v1, v1, v3
	s_waitcnt vmcnt(0)
	v_mad_u64_u32 v[5:6], s[14:15], v1, 24, v[7:8]
	v_and_b32_e32 v2, v2, v4
	v_mov_b32_e32 v1, v6
	v_mad_u64_u32 v[1:2], s[14:15], v2, 24, v[1:2]
	v_mov_b32_e32 v6, v1
	global_load_dwordx2 v[1:2], v[5:6], off glc
	s_waitcnt vmcnt(0)
	global_atomic_cmpswap_x2 v[5:6], v0, v[1:4], s[6:7] offset:24 glc
	s_waitcnt vmcnt(0)
	buffer_wbinvl1_vol
	v_cmp_eq_u64_e32 vcc, v[5:6], v[3:4]
	s_or_b64 s[12:13], vcc, s[12:13]
	s_andn2_b64 exec, exec, s[12:13]
	s_cbranch_execnz .LBB8_207
; %bb.208:
	s_or_b64 exec, exec, s[12:13]
.LBB8_209:
	s_or_b64 exec, exec, s[10:11]
.LBB8_210:
	s_or_b64 exec, exec, s[8:9]
	v_mov_b32_e32 v4, 0
	s_waitcnt lgkmcnt(0)
	global_load_dwordx2 v[7:8], v4, s[6:7] offset:40
	global_load_dwordx4 v[0:3], v4, s[6:7]
	v_readfirstlane_b32 s9, v6
	v_readfirstlane_b32 s8, v5
	s_mov_b64 s[10:11], exec
	s_waitcnt vmcnt(1)
	v_readfirstlane_b32 s12, v7
	v_readfirstlane_b32 s13, v8
	s_and_b64 s[12:13], s[12:13], s[8:9]
	s_mul_i32 s14, s13, 24
	s_mul_hi_u32 s15, s12, 24
	s_mul_i32 s16, s12, 24
	s_add_i32 s14, s15, s14
	v_mov_b32_e32 v5, s14
	s_waitcnt vmcnt(0)
	v_add_co_u32_e32 v7, vcc, s16, v0
	v_addc_co_u32_e32 v8, vcc, v1, v5, vcc
	s_and_saveexec_b64 s[14:15], s[4:5]
	s_cbranch_execz .LBB8_212
; %bb.211:
	v_mov_b32_e32 v9, s10
	v_mov_b32_e32 v10, s11
	;; [unrolled: 1-line block ×4, first 2 shown]
	global_store_dwordx4 v[7:8], v[9:12], off offset:8
.LBB8_212:
	s_or_b64 exec, exec, s[14:15]
	s_lshl_b64 s[10:11], s[12:13], 12
	v_mov_b32_e32 v5, s11
	v_add_co_u32_e32 v2, vcc, s10, v2
	v_addc_co_u32_e32 v11, vcc, v3, v5, vcc
	v_lshlrev_b32_e32 v29, 6, v30
	s_mov_b32 s12, 0
	v_mov_b32_e32 v3, 33
	v_mov_b32_e32 v5, v4
	v_mov_b32_e32 v6, v4
	v_readfirstlane_b32 s10, v2
	v_readfirstlane_b32 s11, v11
	v_add_co_u32_e32 v9, vcc, v2, v29
	s_mov_b32 s13, s12
	s_mov_b32 s14, s12
	;; [unrolled: 1-line block ×3, first 2 shown]
	s_nop 0
	global_store_dwordx4 v29, v[3:6], s[10:11]
	v_mov_b32_e32 v2, s12
	v_addc_co_u32_e32 v10, vcc, 0, v11, vcc
	v_mov_b32_e32 v3, s13
	v_mov_b32_e32 v4, s14
	;; [unrolled: 1-line block ×3, first 2 shown]
	global_store_dwordx4 v29, v[2:5], s[10:11] offset:16
	global_store_dwordx4 v29, v[2:5], s[10:11] offset:32
	global_store_dwordx4 v29, v[2:5], s[10:11] offset:48
	s_and_saveexec_b64 s[10:11], s[4:5]
	s_cbranch_execz .LBB8_220
; %bb.213:
	v_mov_b32_e32 v6, 0
	global_load_dwordx2 v[13:14], v6, s[6:7] offset:32 glc
	global_load_dwordx2 v[2:3], v6, s[6:7] offset:40
	v_mov_b32_e32 v11, s8
	v_mov_b32_e32 v12, s9
	s_waitcnt vmcnt(0)
	v_and_b32_e32 v2, s8, v2
	v_and_b32_e32 v3, s9, v3
	v_mul_lo_u32 v3, v3, 24
	v_mul_hi_u32 v4, v2, 24
	v_mul_lo_u32 v2, v2, 24
	v_add_u32_e32 v3, v4, v3
	v_add_co_u32_e32 v4, vcc, v0, v2
	v_addc_co_u32_e32 v5, vcc, v1, v3, vcc
	global_store_dwordx2 v[4:5], v[13:14], off
	s_waitcnt vmcnt(0)
	global_atomic_cmpswap_x2 v[2:3], v6, v[11:14], s[6:7] offset:32 glc
	s_waitcnt vmcnt(0)
	v_cmp_ne_u64_e32 vcc, v[2:3], v[13:14]
	s_and_saveexec_b64 s[12:13], vcc
	s_cbranch_execz .LBB8_216
; %bb.214:
	s_mov_b64 s[14:15], 0
.LBB8_215:                              ; =>This Inner Loop Header: Depth=1
	s_sleep 1
	global_store_dwordx2 v[4:5], v[2:3], off
	v_mov_b32_e32 v0, s8
	v_mov_b32_e32 v1, s9
	s_waitcnt vmcnt(0)
	global_atomic_cmpswap_x2 v[0:1], v6, v[0:3], s[6:7] offset:32 glc
	s_waitcnt vmcnt(0)
	v_cmp_eq_u64_e32 vcc, v[0:1], v[2:3]
	v_mov_b32_e32 v3, v1
	s_or_b64 s[14:15], vcc, s[14:15]
	v_mov_b32_e32 v2, v0
	s_andn2_b64 exec, exec, s[14:15]
	s_cbranch_execnz .LBB8_215
.LBB8_216:
	s_or_b64 exec, exec, s[12:13]
	v_mov_b32_e32 v3, 0
	global_load_dwordx2 v[0:1], v3, s[6:7] offset:16
	s_mov_b64 s[12:13], exec
	v_mbcnt_lo_u32_b32 v2, s12, 0
	v_mbcnt_hi_u32_b32 v2, s13, v2
	v_cmp_eq_u32_e32 vcc, 0, v2
	s_and_saveexec_b64 s[14:15], vcc
	s_cbranch_execz .LBB8_218
; %bb.217:
	s_bcnt1_i32_b64 s12, s[12:13]
	v_mov_b32_e32 v2, s12
	s_waitcnt vmcnt(0)
	global_atomic_add_x2 v[0:1], v[2:3], off offset:8
.LBB8_218:
	s_or_b64 exec, exec, s[14:15]
	s_waitcnt vmcnt(0)
	global_load_dwordx2 v[2:3], v[0:1], off offset:16
	s_waitcnt vmcnt(0)
	v_cmp_eq_u64_e32 vcc, 0, v[2:3]
	s_cbranch_vccnz .LBB8_220
; %bb.219:
	global_load_dword v0, v[0:1], off offset:24
	v_mov_b32_e32 v1, 0
	s_waitcnt vmcnt(0)
	v_readfirstlane_b32 s12, v0
	s_and_b32 m0, s12, 0xffffff
	global_store_dwordx2 v[2:3], v[0:1], off
	s_sendmsg sendmsg(MSG_INTERRUPT)
.LBB8_220:
	s_or_b64 exec, exec, s[10:11]
	s_branch .LBB8_224
.LBB8_221:                              ;   in Loop: Header=BB8_224 Depth=1
	s_or_b64 exec, exec, s[10:11]
	v_readfirstlane_b32 s10, v0
	s_cmp_eq_u32 s10, 0
	s_cbranch_scc1 .LBB8_223
; %bb.222:                              ;   in Loop: Header=BB8_224 Depth=1
	s_sleep 1
	s_cbranch_execnz .LBB8_224
	s_branch .LBB8_226
.LBB8_223:
	s_branch .LBB8_226
.LBB8_224:                              ; =>This Inner Loop Header: Depth=1
	v_mov_b32_e32 v0, 1
	s_and_saveexec_b64 s[10:11], s[4:5]
	s_cbranch_execz .LBB8_221
; %bb.225:                              ;   in Loop: Header=BB8_224 Depth=1
	global_load_dword v0, v[7:8], off offset:20 glc
	s_waitcnt vmcnt(0)
	buffer_wbinvl1_vol
	v_and_b32_e32 v0, 1, v0
	s_branch .LBB8_221
.LBB8_226:
	global_load_dwordx2 v[0:1], v[9:10], off
	s_and_saveexec_b64 s[10:11], s[4:5]
	s_cbranch_execz .LBB8_229
; %bb.227:
	v_mov_b32_e32 v8, 0
	global_load_dwordx2 v[2:3], v8, s[6:7] offset:40
	global_load_dwordx2 v[11:12], v8, s[6:7] offset:24 glc
	global_load_dwordx2 v[4:5], v8, s[6:7]
	s_waitcnt vmcnt(2)
	v_readfirstlane_b32 s12, v2
	v_readfirstlane_b32 s13, v3
	s_add_u32 s14, s12, 1
	s_addc_u32 s15, s13, 0
	s_add_u32 s4, s14, s8
	s_addc_u32 s5, s15, s9
	s_cmp_eq_u64 s[4:5], 0
	s_cselect_b32 s5, s15, s5
	s_cselect_b32 s4, s14, s4
	s_and_b64 s[8:9], s[4:5], s[12:13]
	s_mul_i32 s9, s9, 24
	s_mul_hi_u32 s12, s8, 24
	s_mul_i32 s8, s8, 24
	s_add_i32 s9, s12, s9
	v_mov_b32_e32 v2, s9
	s_waitcnt vmcnt(0)
	v_add_co_u32_e32 v6, vcc, s8, v4
	v_addc_co_u32_e32 v7, vcc, v5, v2, vcc
	v_mov_b32_e32 v9, s4
	global_store_dwordx2 v[6:7], v[11:12], off
	v_mov_b32_e32 v10, s5
	s_waitcnt vmcnt(0)
	global_atomic_cmpswap_x2 v[4:5], v8, v[9:12], s[6:7] offset:24 glc
	s_mov_b64 s[8:9], 0
	s_waitcnt vmcnt(0)
	v_cmp_ne_u64_e32 vcc, v[4:5], v[11:12]
	s_and_b64 exec, exec, vcc
	s_cbranch_execz .LBB8_229
.LBB8_228:                              ; =>This Inner Loop Header: Depth=1
	s_sleep 1
	global_store_dwordx2 v[6:7], v[4:5], off
	v_mov_b32_e32 v2, s4
	v_mov_b32_e32 v3, s5
	s_waitcnt vmcnt(0)
	global_atomic_cmpswap_x2 v[2:3], v8, v[2:5], s[6:7] offset:24 glc
	s_waitcnt vmcnt(0)
	v_cmp_eq_u64_e32 vcc, v[2:3], v[4:5]
	v_mov_b32_e32 v5, v3
	s_or_b64 s[8:9], vcc, s[8:9]
	v_mov_b32_e32 v4, v2
	s_andn2_b64 exec, exec, s[8:9]
	s_cbranch_execnz .LBB8_228
.LBB8_229:
	s_or_b64 exec, exec, s[10:11]
	s_getpc_b64 s[8:9]
	s_add_u32 s8, s8, .str.28@rel32@lo+4
	s_addc_u32 s9, s9, .str.28@rel32@hi+12
	s_cmp_lg_u64 s[8:9], 0
	s_cbranch_scc0 .LBB8_322
; %bb.230:
	s_waitcnt vmcnt(0)
	v_and_b32_e32 v6, -3, v0
	v_mov_b32_e32 v7, v1
	s_mov_b64 s[10:11], 35
	v_mov_b32_e32 v26, 0
	v_mov_b32_e32 v4, 2
	;; [unrolled: 1-line block ×3, first 2 shown]
	s_branch .LBB8_232
.LBB8_231:                              ;   in Loop: Header=BB8_232 Depth=1
	s_or_b64 exec, exec, s[16:17]
	s_sub_u32 s10, s10, s12
	s_subb_u32 s11, s11, s13
	s_add_u32 s8, s8, s12
	s_addc_u32 s9, s9, s13
	s_cmp_lg_u64 s[10:11], 0
	s_cbranch_scc0 .LBB8_321
.LBB8_232:                              ; =>This Loop Header: Depth=1
                                        ;     Child Loop BB8_235 Depth 2
                                        ;     Child Loop BB8_244 Depth 2
	;; [unrolled: 1-line block ×11, first 2 shown]
	v_cmp_lt_u64_e64 s[4:5], s[10:11], 56
	v_cmp_gt_u64_e64 s[14:15], s[10:11], 7
	s_and_b64 s[4:5], s[4:5], exec
	s_cselect_b32 s13, s11, 0
	s_cselect_b32 s12, s10, 56
	s_add_u32 s4, s8, 8
	s_addc_u32 s5, s9, 0
	s_and_b64 vcc, exec, s[14:15]
	s_cbranch_vccnz .LBB8_236
; %bb.233:                              ;   in Loop: Header=BB8_232 Depth=1
	s_cmp_eq_u64 s[10:11], 0
	s_cbranch_scc1 .LBB8_237
; %bb.234:                              ;   in Loop: Header=BB8_232 Depth=1
	s_waitcnt vmcnt(0)
	v_mov_b32_e32 v8, 0
	s_lshl_b64 s[4:5], s[12:13], 3
	s_mov_b64 s[14:15], 0
	v_mov_b32_e32 v9, 0
	s_mov_b64 s[16:17], s[8:9]
.LBB8_235:                              ;   Parent Loop BB8_232 Depth=1
                                        ; =>  This Inner Loop Header: Depth=2
	global_load_ubyte v2, v26, s[16:17]
	s_waitcnt vmcnt(0)
	v_and_b32_e32 v25, 0xffff, v2
	v_lshlrev_b64 v[2:3], s14, v[25:26]
	s_add_u32 s14, s14, 8
	s_addc_u32 s15, s15, 0
	s_add_u32 s16, s16, 1
	s_addc_u32 s17, s17, 0
	v_or_b32_e32 v8, v2, v8
	s_cmp_lg_u32 s4, s14
	v_or_b32_e32 v9, v3, v9
	s_cbranch_scc1 .LBB8_235
	s_branch .LBB8_238
.LBB8_236:                              ;   in Loop: Header=BB8_232 Depth=1
	s_mov_b64 s[14:15], -1
	s_branch .LBB8_239
.LBB8_237:                              ;   in Loop: Header=BB8_232 Depth=1
	s_waitcnt vmcnt(0)
	v_mov_b32_e32 v8, 0
	v_mov_b32_e32 v9, 0
.LBB8_238:                              ;   in Loop: Header=BB8_232 Depth=1
	s_mov_b64 s[14:15], 0
	s_mov_b64 s[4:5], s[8:9]
.LBB8_239:                              ;   in Loop: Header=BB8_232 Depth=1
	s_andn2_b64 vcc, exec, s[14:15]
	s_mov_b32 s18, 0
	s_cbranch_vccnz .LBB8_241
; %bb.240:                              ;   in Loop: Header=BB8_232 Depth=1
	global_load_dwordx2 v[8:9], v26, s[8:9]
	s_add_i32 s18, s12, -8
.LBB8_241:                              ;   in Loop: Header=BB8_232 Depth=1
	s_add_u32 s14, s4, 8
	s_addc_u32 s15, s5, 0
	s_cmp_gt_u32 s18, 7
	s_cbranch_scc1 .LBB8_245
; %bb.242:                              ;   in Loop: Header=BB8_232 Depth=1
	s_cmp_eq_u32 s18, 0
	s_cbranch_scc1 .LBB8_246
; %bb.243:                              ;   in Loop: Header=BB8_232 Depth=1
	v_mov_b32_e32 v10, 0
	s_mov_b64 s[14:15], 0
	v_mov_b32_e32 v11, 0
	s_mov_b64 s[16:17], 0
.LBB8_244:                              ;   Parent Loop BB8_232 Depth=1
                                        ; =>  This Inner Loop Header: Depth=2
	s_add_u32 s20, s4, s16
	s_addc_u32 s21, s5, s17
	global_load_ubyte v2, v26, s[20:21]
	s_add_u32 s16, s16, 1
	s_addc_u32 s17, s17, 0
	s_waitcnt vmcnt(0)
	v_and_b32_e32 v25, 0xffff, v2
	v_lshlrev_b64 v[2:3], s14, v[25:26]
	s_add_u32 s14, s14, 8
	s_addc_u32 s15, s15, 0
	v_or_b32_e32 v10, v2, v10
	s_cmp_lg_u32 s18, s16
	v_or_b32_e32 v11, v3, v11
	s_cbranch_scc1 .LBB8_244
	s_branch .LBB8_247
.LBB8_245:                              ;   in Loop: Header=BB8_232 Depth=1
	s_mov_b64 s[16:17], -1
                                        ; implicit-def: $vgpr10_vgpr11
	s_branch .LBB8_248
.LBB8_246:                              ;   in Loop: Header=BB8_232 Depth=1
	v_mov_b32_e32 v10, 0
	v_mov_b32_e32 v11, 0
.LBB8_247:                              ;   in Loop: Header=BB8_232 Depth=1
	s_mov_b64 s[16:17], 0
	s_mov_b64 s[14:15], s[4:5]
.LBB8_248:                              ;   in Loop: Header=BB8_232 Depth=1
	s_andn2_b64 vcc, exec, s[16:17]
	s_mov_b32 s19, 0
	s_cbranch_vccnz .LBB8_250
; %bb.249:                              ;   in Loop: Header=BB8_232 Depth=1
	global_load_dwordx2 v[10:11], v26, s[4:5]
	s_add_i32 s19, s18, -8
.LBB8_250:                              ;   in Loop: Header=BB8_232 Depth=1
	s_add_u32 s4, s14, 8
	s_addc_u32 s5, s15, 0
	s_cmp_gt_u32 s19, 7
	s_cbranch_scc1 .LBB8_254
; %bb.251:                              ;   in Loop: Header=BB8_232 Depth=1
	s_cmp_eq_u32 s19, 0
	s_cbranch_scc1 .LBB8_255
; %bb.252:                              ;   in Loop: Header=BB8_232 Depth=1
	v_mov_b32_e32 v12, 0
	s_mov_b64 s[4:5], 0
	v_mov_b32_e32 v13, 0
	s_mov_b64 s[16:17], 0
.LBB8_253:                              ;   Parent Loop BB8_232 Depth=1
                                        ; =>  This Inner Loop Header: Depth=2
	s_add_u32 s20, s14, s16
	s_addc_u32 s21, s15, s17
	global_load_ubyte v2, v26, s[20:21]
	s_add_u32 s16, s16, 1
	s_addc_u32 s17, s17, 0
	s_waitcnt vmcnt(0)
	v_and_b32_e32 v25, 0xffff, v2
	v_lshlrev_b64 v[2:3], s4, v[25:26]
	s_add_u32 s4, s4, 8
	s_addc_u32 s5, s5, 0
	v_or_b32_e32 v12, v2, v12
	s_cmp_lg_u32 s19, s16
	v_or_b32_e32 v13, v3, v13
	s_cbranch_scc1 .LBB8_253
	s_branch .LBB8_256
.LBB8_254:                              ;   in Loop: Header=BB8_232 Depth=1
	s_mov_b64 s[16:17], -1
	s_branch .LBB8_257
.LBB8_255:                              ;   in Loop: Header=BB8_232 Depth=1
	v_mov_b32_e32 v12, 0
	v_mov_b32_e32 v13, 0
.LBB8_256:                              ;   in Loop: Header=BB8_232 Depth=1
	s_mov_b64 s[16:17], 0
	s_mov_b64 s[4:5], s[14:15]
.LBB8_257:                              ;   in Loop: Header=BB8_232 Depth=1
	s_andn2_b64 vcc, exec, s[16:17]
	s_mov_b32 s18, 0
	s_cbranch_vccnz .LBB8_259
; %bb.258:                              ;   in Loop: Header=BB8_232 Depth=1
	global_load_dwordx2 v[12:13], v26, s[14:15]
	s_add_i32 s18, s19, -8
.LBB8_259:                              ;   in Loop: Header=BB8_232 Depth=1
	s_add_u32 s14, s4, 8
	s_addc_u32 s15, s5, 0
	s_cmp_gt_u32 s18, 7
	s_cbranch_scc1 .LBB8_263
; %bb.260:                              ;   in Loop: Header=BB8_232 Depth=1
	s_cmp_eq_u32 s18, 0
	s_cbranch_scc1 .LBB8_264
; %bb.261:                              ;   in Loop: Header=BB8_232 Depth=1
	v_mov_b32_e32 v14, 0
	s_mov_b64 s[14:15], 0
	v_mov_b32_e32 v15, 0
	s_mov_b64 s[16:17], 0
.LBB8_262:                              ;   Parent Loop BB8_232 Depth=1
                                        ; =>  This Inner Loop Header: Depth=2
	s_add_u32 s20, s4, s16
	s_addc_u32 s21, s5, s17
	global_load_ubyte v2, v26, s[20:21]
	s_add_u32 s16, s16, 1
	s_addc_u32 s17, s17, 0
	s_waitcnt vmcnt(0)
	v_and_b32_e32 v25, 0xffff, v2
	v_lshlrev_b64 v[2:3], s14, v[25:26]
	s_add_u32 s14, s14, 8
	s_addc_u32 s15, s15, 0
	v_or_b32_e32 v14, v2, v14
	s_cmp_lg_u32 s18, s16
	v_or_b32_e32 v15, v3, v15
	s_cbranch_scc1 .LBB8_262
	s_branch .LBB8_265
.LBB8_263:                              ;   in Loop: Header=BB8_232 Depth=1
	s_mov_b64 s[16:17], -1
                                        ; implicit-def: $vgpr14_vgpr15
	s_branch .LBB8_266
.LBB8_264:                              ;   in Loop: Header=BB8_232 Depth=1
	v_mov_b32_e32 v14, 0
	v_mov_b32_e32 v15, 0
.LBB8_265:                              ;   in Loop: Header=BB8_232 Depth=1
	s_mov_b64 s[16:17], 0
	s_mov_b64 s[14:15], s[4:5]
.LBB8_266:                              ;   in Loop: Header=BB8_232 Depth=1
	s_andn2_b64 vcc, exec, s[16:17]
	s_mov_b32 s19, 0
	s_cbranch_vccnz .LBB8_268
; %bb.267:                              ;   in Loop: Header=BB8_232 Depth=1
	global_load_dwordx2 v[14:15], v26, s[4:5]
	s_add_i32 s19, s18, -8
.LBB8_268:                              ;   in Loop: Header=BB8_232 Depth=1
	s_add_u32 s4, s14, 8
	s_addc_u32 s5, s15, 0
	s_cmp_gt_u32 s19, 7
	s_cbranch_scc1 .LBB8_272
; %bb.269:                              ;   in Loop: Header=BB8_232 Depth=1
	s_cmp_eq_u32 s19, 0
	s_cbranch_scc1 .LBB8_273
; %bb.270:                              ;   in Loop: Header=BB8_232 Depth=1
	v_mov_b32_e32 v16, 0
	s_mov_b64 s[4:5], 0
	v_mov_b32_e32 v17, 0
	s_mov_b64 s[16:17], 0
.LBB8_271:                              ;   Parent Loop BB8_232 Depth=1
                                        ; =>  This Inner Loop Header: Depth=2
	s_add_u32 s20, s14, s16
	s_addc_u32 s21, s15, s17
	global_load_ubyte v2, v26, s[20:21]
	s_add_u32 s16, s16, 1
	s_addc_u32 s17, s17, 0
	s_waitcnt vmcnt(0)
	v_and_b32_e32 v25, 0xffff, v2
	v_lshlrev_b64 v[2:3], s4, v[25:26]
	s_add_u32 s4, s4, 8
	s_addc_u32 s5, s5, 0
	v_or_b32_e32 v16, v2, v16
	s_cmp_lg_u32 s19, s16
	v_or_b32_e32 v17, v3, v17
	s_cbranch_scc1 .LBB8_271
	s_branch .LBB8_274
.LBB8_272:                              ;   in Loop: Header=BB8_232 Depth=1
	s_mov_b64 s[16:17], -1
	s_branch .LBB8_275
.LBB8_273:                              ;   in Loop: Header=BB8_232 Depth=1
	v_mov_b32_e32 v16, 0
	v_mov_b32_e32 v17, 0
.LBB8_274:                              ;   in Loop: Header=BB8_232 Depth=1
	s_mov_b64 s[16:17], 0
	s_mov_b64 s[4:5], s[14:15]
.LBB8_275:                              ;   in Loop: Header=BB8_232 Depth=1
	s_andn2_b64 vcc, exec, s[16:17]
	s_mov_b32 s18, 0
	s_cbranch_vccnz .LBB8_277
; %bb.276:                              ;   in Loop: Header=BB8_232 Depth=1
	global_load_dwordx2 v[16:17], v26, s[14:15]
	s_add_i32 s18, s19, -8
.LBB8_277:                              ;   in Loop: Header=BB8_232 Depth=1
	s_add_u32 s14, s4, 8
	s_addc_u32 s15, s5, 0
	s_cmp_gt_u32 s18, 7
	s_cbranch_scc1 .LBB8_281
; %bb.278:                              ;   in Loop: Header=BB8_232 Depth=1
	s_cmp_eq_u32 s18, 0
	s_cbranch_scc1 .LBB8_282
; %bb.279:                              ;   in Loop: Header=BB8_232 Depth=1
	v_mov_b32_e32 v18, 0
	s_mov_b64 s[14:15], 0
	v_mov_b32_e32 v19, 0
	s_mov_b64 s[16:17], 0
.LBB8_280:                              ;   Parent Loop BB8_232 Depth=1
                                        ; =>  This Inner Loop Header: Depth=2
	s_add_u32 s20, s4, s16
	s_addc_u32 s21, s5, s17
	global_load_ubyte v2, v26, s[20:21]
	s_add_u32 s16, s16, 1
	s_addc_u32 s17, s17, 0
	s_waitcnt vmcnt(0)
	v_and_b32_e32 v25, 0xffff, v2
	v_lshlrev_b64 v[2:3], s14, v[25:26]
	s_add_u32 s14, s14, 8
	s_addc_u32 s15, s15, 0
	v_or_b32_e32 v18, v2, v18
	s_cmp_lg_u32 s18, s16
	v_or_b32_e32 v19, v3, v19
	s_cbranch_scc1 .LBB8_280
	s_branch .LBB8_283
.LBB8_281:                              ;   in Loop: Header=BB8_232 Depth=1
	s_mov_b64 s[16:17], -1
                                        ; implicit-def: $vgpr18_vgpr19
	s_branch .LBB8_284
.LBB8_282:                              ;   in Loop: Header=BB8_232 Depth=1
	v_mov_b32_e32 v18, 0
	v_mov_b32_e32 v19, 0
.LBB8_283:                              ;   in Loop: Header=BB8_232 Depth=1
	s_mov_b64 s[16:17], 0
	s_mov_b64 s[14:15], s[4:5]
.LBB8_284:                              ;   in Loop: Header=BB8_232 Depth=1
	s_andn2_b64 vcc, exec, s[16:17]
	s_mov_b32 s19, 0
	s_cbranch_vccnz .LBB8_286
; %bb.285:                              ;   in Loop: Header=BB8_232 Depth=1
	global_load_dwordx2 v[18:19], v26, s[4:5]
	s_add_i32 s19, s18, -8
.LBB8_286:                              ;   in Loop: Header=BB8_232 Depth=1
	s_cmp_gt_u32 s19, 7
	s_cbranch_scc1 .LBB8_290
; %bb.287:                              ;   in Loop: Header=BB8_232 Depth=1
	s_cmp_eq_u32 s19, 0
	s_cbranch_scc1 .LBB8_291
; %bb.288:                              ;   in Loop: Header=BB8_232 Depth=1
	v_mov_b32_e32 v20, 0
	s_mov_b64 s[4:5], 0
	v_mov_b32_e32 v21, 0
	s_mov_b64 s[16:17], s[14:15]
.LBB8_289:                              ;   Parent Loop BB8_232 Depth=1
                                        ; =>  This Inner Loop Header: Depth=2
	global_load_ubyte v2, v26, s[16:17]
	s_add_i32 s19, s19, -1
	s_waitcnt vmcnt(0)
	v_and_b32_e32 v25, 0xffff, v2
	v_lshlrev_b64 v[2:3], s4, v[25:26]
	s_add_u32 s4, s4, 8
	s_addc_u32 s5, s5, 0
	s_add_u32 s16, s16, 1
	s_addc_u32 s17, s17, 0
	v_or_b32_e32 v20, v2, v20
	s_cmp_lg_u32 s19, 0
	v_or_b32_e32 v21, v3, v21
	s_cbranch_scc1 .LBB8_289
	s_branch .LBB8_292
.LBB8_290:                              ;   in Loop: Header=BB8_232 Depth=1
	s_mov_b64 s[4:5], -1
	s_branch .LBB8_293
.LBB8_291:                              ;   in Loop: Header=BB8_232 Depth=1
	v_mov_b32_e32 v20, 0
	v_mov_b32_e32 v21, 0
.LBB8_292:                              ;   in Loop: Header=BB8_232 Depth=1
	s_mov_b64 s[4:5], 0
.LBB8_293:                              ;   in Loop: Header=BB8_232 Depth=1
	s_andn2_b64 vcc, exec, s[4:5]
	s_cbranch_vccnz .LBB8_295
; %bb.294:                              ;   in Loop: Header=BB8_232 Depth=1
	global_load_dwordx2 v[20:21], v26, s[14:15]
.LBB8_295:                              ;   in Loop: Header=BB8_232 Depth=1
	v_readfirstlane_b32 s4, v30
	v_mov_b32_e32 v2, 0
	v_mov_b32_e32 v3, 0
	v_cmp_eq_u32_e64 s[4:5], s4, v30
	s_and_saveexec_b64 s[14:15], s[4:5]
	s_cbranch_execz .LBB8_301
; %bb.296:                              ;   in Loop: Header=BB8_232 Depth=1
	global_load_dwordx2 v[24:25], v26, s[6:7] offset:24 glc
	s_waitcnt vmcnt(0)
	buffer_wbinvl1_vol
	global_load_dwordx2 v[2:3], v26, s[6:7] offset:40
	global_load_dwordx2 v[22:23], v26, s[6:7]
	s_waitcnt vmcnt(1)
	v_and_b32_e32 v2, v2, v24
	v_and_b32_e32 v3, v3, v25
	v_mul_lo_u32 v3, v3, 24
	v_mul_hi_u32 v27, v2, 24
	v_mul_lo_u32 v2, v2, 24
	v_add_u32_e32 v3, v27, v3
	s_waitcnt vmcnt(0)
	v_add_co_u32_e32 v2, vcc, v22, v2
	v_addc_co_u32_e32 v3, vcc, v23, v3, vcc
	global_load_dwordx2 v[22:23], v[2:3], off glc
	s_waitcnt vmcnt(0)
	global_atomic_cmpswap_x2 v[2:3], v26, v[22:25], s[6:7] offset:24 glc
	s_waitcnt vmcnt(0)
	buffer_wbinvl1_vol
	v_cmp_ne_u64_e32 vcc, v[2:3], v[24:25]
	s_and_saveexec_b64 s[16:17], vcc
	s_cbranch_execz .LBB8_300
; %bb.297:                              ;   in Loop: Header=BB8_232 Depth=1
	s_mov_b64 s[18:19], 0
.LBB8_298:                              ;   Parent Loop BB8_232 Depth=1
                                        ; =>  This Inner Loop Header: Depth=2
	s_sleep 1
	global_load_dwordx2 v[22:23], v26, s[6:7] offset:40
	global_load_dwordx2 v[27:28], v26, s[6:7]
	v_mov_b32_e32 v25, v3
	v_mov_b32_e32 v24, v2
	s_waitcnt vmcnt(1)
	v_and_b32_e32 v2, v22, v24
	s_waitcnt vmcnt(0)
	v_mad_u64_u32 v[2:3], s[20:21], v2, 24, v[27:28]
	v_and_b32_e32 v22, v23, v25
	v_mad_u64_u32 v[22:23], s[20:21], v22, 24, v[3:4]
	v_mov_b32_e32 v3, v22
	global_load_dwordx2 v[22:23], v[2:3], off glc
	s_waitcnt vmcnt(0)
	global_atomic_cmpswap_x2 v[2:3], v26, v[22:25], s[6:7] offset:24 glc
	s_waitcnt vmcnt(0)
	buffer_wbinvl1_vol
	v_cmp_eq_u64_e32 vcc, v[2:3], v[24:25]
	s_or_b64 s[18:19], vcc, s[18:19]
	s_andn2_b64 exec, exec, s[18:19]
	s_cbranch_execnz .LBB8_298
; %bb.299:                              ;   in Loop: Header=BB8_232 Depth=1
	s_or_b64 exec, exec, s[18:19]
.LBB8_300:                              ;   in Loop: Header=BB8_232 Depth=1
	s_or_b64 exec, exec, s[16:17]
.LBB8_301:                              ;   in Loop: Header=BB8_232 Depth=1
	s_or_b64 exec, exec, s[14:15]
	global_load_dwordx2 v[27:28], v26, s[6:7] offset:40
	global_load_dwordx4 v[22:25], v26, s[6:7]
	v_readfirstlane_b32 s15, v3
	v_readfirstlane_b32 s14, v2
	s_mov_b64 s[16:17], exec
	s_waitcnt vmcnt(1)
	v_readfirstlane_b32 s18, v27
	v_readfirstlane_b32 s19, v28
	s_and_b64 s[18:19], s[18:19], s[14:15]
	s_mul_i32 s20, s19, 24
	s_mul_hi_u32 s21, s18, 24
	s_mul_i32 s22, s18, 24
	s_add_i32 s20, s21, s20
	v_mov_b32_e32 v2, s20
	s_waitcnt vmcnt(0)
	v_add_co_u32_e32 v27, vcc, s22, v22
	v_addc_co_u32_e32 v28, vcc, v23, v2, vcc
	s_and_saveexec_b64 s[20:21], s[4:5]
	s_cbranch_execz .LBB8_303
; %bb.302:                              ;   in Loop: Header=BB8_232 Depth=1
	v_mov_b32_e32 v2, s16
	v_mov_b32_e32 v3, s17
	global_store_dwordx4 v[27:28], v[2:5], off offset:8
.LBB8_303:                              ;   in Loop: Header=BB8_232 Depth=1
	s_or_b64 exec, exec, s[20:21]
	s_lshl_b64 s[16:17], s[18:19], 12
	v_cmp_gt_u64_e64 s[18:19], s[10:11], 56
	v_mov_b32_e32 v2, s17
	v_add_co_u32_e32 v24, vcc, s16, v24
	s_and_b64 s[16:17], s[18:19], exec
	s_cselect_b32 s16, 0, 2
	s_lshl_b32 s17, s12, 2
	v_addc_co_u32_e32 v31, vcc, v25, v2, vcc
	s_add_i32 s17, s17, 28
	v_and_b32_e32 v2, 0xffffff1f, v6
	s_and_b32 s17, s17, 0x1e0
	v_or_b32_e32 v2, s16, v2
	v_or_b32_e32 v6, s17, v2
	v_readfirstlane_b32 s16, v24
	v_readfirstlane_b32 s17, v31
	s_nop 4
	global_store_dwordx4 v29, v[6:9], s[16:17]
	global_store_dwordx4 v29, v[10:13], s[16:17] offset:16
	global_store_dwordx4 v29, v[14:17], s[16:17] offset:32
	;; [unrolled: 1-line block ×3, first 2 shown]
	s_and_saveexec_b64 s[16:17], s[4:5]
	s_cbranch_execz .LBB8_311
; %bb.304:                              ;   in Loop: Header=BB8_232 Depth=1
	global_load_dwordx2 v[10:11], v26, s[6:7] offset:32 glc
	global_load_dwordx2 v[2:3], v26, s[6:7] offset:40
	v_mov_b32_e32 v8, s14
	v_mov_b32_e32 v9, s15
	s_waitcnt vmcnt(0)
	v_readfirstlane_b32 s18, v2
	v_readfirstlane_b32 s19, v3
	s_and_b64 s[18:19], s[18:19], s[14:15]
	s_mul_i32 s19, s19, 24
	s_mul_hi_u32 s20, s18, 24
	s_mul_i32 s18, s18, 24
	s_add_i32 s19, s20, s19
	v_mov_b32_e32 v3, s19
	v_add_co_u32_e32 v2, vcc, s18, v22
	v_addc_co_u32_e32 v3, vcc, v23, v3, vcc
	global_store_dwordx2 v[2:3], v[10:11], off
	s_waitcnt vmcnt(0)
	global_atomic_cmpswap_x2 v[8:9], v26, v[8:11], s[6:7] offset:32 glc
	s_waitcnt vmcnt(0)
	v_cmp_ne_u64_e32 vcc, v[8:9], v[10:11]
	s_and_saveexec_b64 s[18:19], vcc
	s_cbranch_execz .LBB8_307
; %bb.305:                              ;   in Loop: Header=BB8_232 Depth=1
	s_mov_b64 s[20:21], 0
.LBB8_306:                              ;   Parent Loop BB8_232 Depth=1
                                        ; =>  This Inner Loop Header: Depth=2
	s_sleep 1
	global_store_dwordx2 v[2:3], v[8:9], off
	v_mov_b32_e32 v6, s14
	v_mov_b32_e32 v7, s15
	s_waitcnt vmcnt(0)
	global_atomic_cmpswap_x2 v[6:7], v26, v[6:9], s[6:7] offset:32 glc
	s_waitcnt vmcnt(0)
	v_cmp_eq_u64_e32 vcc, v[6:7], v[8:9]
	v_mov_b32_e32 v9, v7
	s_or_b64 s[20:21], vcc, s[20:21]
	v_mov_b32_e32 v8, v6
	s_andn2_b64 exec, exec, s[20:21]
	s_cbranch_execnz .LBB8_306
.LBB8_307:                              ;   in Loop: Header=BB8_232 Depth=1
	s_or_b64 exec, exec, s[18:19]
	global_load_dwordx2 v[2:3], v26, s[6:7] offset:16
	s_mov_b64 s[20:21], exec
	v_mbcnt_lo_u32_b32 v6, s20, 0
	v_mbcnt_hi_u32_b32 v6, s21, v6
	v_cmp_eq_u32_e32 vcc, 0, v6
	s_and_saveexec_b64 s[18:19], vcc
	s_cbranch_execz .LBB8_309
; %bb.308:                              ;   in Loop: Header=BB8_232 Depth=1
	s_bcnt1_i32_b64 s20, s[20:21]
	v_mov_b32_e32 v25, s20
	s_waitcnt vmcnt(0)
	global_atomic_add_x2 v[2:3], v[25:26], off offset:8
.LBB8_309:                              ;   in Loop: Header=BB8_232 Depth=1
	s_or_b64 exec, exec, s[18:19]
	s_waitcnt vmcnt(0)
	global_load_dwordx2 v[6:7], v[2:3], off offset:16
	s_waitcnt vmcnt(0)
	v_cmp_eq_u64_e32 vcc, 0, v[6:7]
	s_cbranch_vccnz .LBB8_311
; %bb.310:                              ;   in Loop: Header=BB8_232 Depth=1
	global_load_dword v25, v[2:3], off offset:24
	s_waitcnt vmcnt(0)
	v_readfirstlane_b32 s18, v25
	s_and_b32 m0, s18, 0xffffff
	global_store_dwordx2 v[6:7], v[25:26], off
	s_sendmsg sendmsg(MSG_INTERRUPT)
.LBB8_311:                              ;   in Loop: Header=BB8_232 Depth=1
	s_or_b64 exec, exec, s[16:17]
	v_add_co_u32_e32 v2, vcc, v24, v29
	v_addc_co_u32_e32 v3, vcc, 0, v31, vcc
	s_branch .LBB8_315
.LBB8_312:                              ;   in Loop: Header=BB8_315 Depth=2
	s_or_b64 exec, exec, s[16:17]
	v_readfirstlane_b32 s16, v6
	s_cmp_eq_u32 s16, 0
	s_cbranch_scc1 .LBB8_314
; %bb.313:                              ;   in Loop: Header=BB8_315 Depth=2
	s_sleep 1
	s_cbranch_execnz .LBB8_315
	s_branch .LBB8_317
.LBB8_314:                              ;   in Loop: Header=BB8_232 Depth=1
	s_branch .LBB8_317
.LBB8_315:                              ;   Parent Loop BB8_232 Depth=1
                                        ; =>  This Inner Loop Header: Depth=2
	v_mov_b32_e32 v6, 1
	s_and_saveexec_b64 s[16:17], s[4:5]
	s_cbranch_execz .LBB8_312
; %bb.316:                              ;   in Loop: Header=BB8_315 Depth=2
	global_load_dword v6, v[27:28], off offset:20 glc
	s_waitcnt vmcnt(0)
	buffer_wbinvl1_vol
	v_and_b32_e32 v6, 1, v6
	s_branch .LBB8_312
.LBB8_317:                              ;   in Loop: Header=BB8_232 Depth=1
	global_load_dwordx4 v[6:9], v[2:3], off
	s_and_saveexec_b64 s[16:17], s[4:5]
	s_cbranch_execz .LBB8_231
; %bb.318:                              ;   in Loop: Header=BB8_232 Depth=1
	global_load_dwordx2 v[2:3], v26, s[6:7] offset:40
	global_load_dwordx2 v[12:13], v26, s[6:7] offset:24 glc
	global_load_dwordx2 v[8:9], v26, s[6:7]
	s_waitcnt vmcnt(2)
	v_readfirstlane_b32 s18, v2
	v_readfirstlane_b32 s19, v3
	s_add_u32 s20, s18, 1
	s_addc_u32 s21, s19, 0
	s_add_u32 s4, s20, s14
	s_addc_u32 s5, s21, s15
	s_cmp_eq_u64 s[4:5], 0
	s_cselect_b32 s5, s21, s5
	s_cselect_b32 s4, s20, s4
	s_and_b64 s[14:15], s[4:5], s[18:19]
	s_mul_i32 s15, s15, 24
	s_mul_hi_u32 s18, s14, 24
	s_mul_i32 s14, s14, 24
	s_add_i32 s15, s18, s15
	v_mov_b32_e32 v3, s15
	s_waitcnt vmcnt(0)
	v_add_co_u32_e32 v2, vcc, s14, v8
	v_addc_co_u32_e32 v3, vcc, v9, v3, vcc
	v_mov_b32_e32 v10, s4
	global_store_dwordx2 v[2:3], v[12:13], off
	v_mov_b32_e32 v11, s5
	s_waitcnt vmcnt(0)
	global_atomic_cmpswap_x2 v[10:11], v26, v[10:13], s[6:7] offset:24 glc
	s_waitcnt vmcnt(0)
	v_cmp_ne_u64_e32 vcc, v[10:11], v[12:13]
	s_and_b64 exec, exec, vcc
	s_cbranch_execz .LBB8_231
; %bb.319:                              ;   in Loop: Header=BB8_232 Depth=1
	s_mov_b64 s[14:15], 0
.LBB8_320:                              ;   Parent Loop BB8_232 Depth=1
                                        ; =>  This Inner Loop Header: Depth=2
	s_sleep 1
	global_store_dwordx2 v[2:3], v[10:11], off
	v_mov_b32_e32 v8, s4
	v_mov_b32_e32 v9, s5
	s_waitcnt vmcnt(0)
	global_atomic_cmpswap_x2 v[8:9], v26, v[8:11], s[6:7] offset:24 glc
	s_waitcnt vmcnt(0)
	v_cmp_eq_u64_e32 vcc, v[8:9], v[10:11]
	v_mov_b32_e32 v11, v9
	s_or_b64 s[14:15], vcc, s[14:15]
	v_mov_b32_e32 v10, v8
	s_andn2_b64 exec, exec, s[14:15]
	s_cbranch_execnz .LBB8_320
	s_branch .LBB8_231
.LBB8_321:
	s_mov_b64 s[4:5], 0
	s_branch .LBB8_323
.LBB8_322:
	s_mov_b64 s[4:5], -1
.LBB8_323:
	s_and_b64 vcc, exec, s[4:5]
	s_cbranch_vccz .LBB8_350
; %bb.324:
	v_readfirstlane_b32 s4, v30
	s_waitcnt vmcnt(0)
	v_mov_b32_e32 v8, 0
	v_mov_b32_e32 v9, 0
	v_cmp_eq_u32_e64 s[4:5], s4, v30
	s_and_saveexec_b64 s[8:9], s[4:5]
	s_cbranch_execz .LBB8_330
; %bb.325:
	v_mov_b32_e32 v2, 0
	global_load_dwordx2 v[5:6], v2, s[6:7] offset:24 glc
	s_waitcnt vmcnt(0)
	buffer_wbinvl1_vol
	global_load_dwordx2 v[3:4], v2, s[6:7] offset:40
	global_load_dwordx2 v[7:8], v2, s[6:7]
	s_waitcnt vmcnt(1)
	v_and_b32_e32 v3, v3, v5
	v_and_b32_e32 v4, v4, v6
	v_mul_lo_u32 v4, v4, 24
	v_mul_hi_u32 v9, v3, 24
	v_mul_lo_u32 v3, v3, 24
	v_add_u32_e32 v4, v9, v4
	s_waitcnt vmcnt(0)
	v_add_co_u32_e32 v3, vcc, v7, v3
	v_addc_co_u32_e32 v4, vcc, v8, v4, vcc
	global_load_dwordx2 v[3:4], v[3:4], off glc
	s_waitcnt vmcnt(0)
	global_atomic_cmpswap_x2 v[8:9], v2, v[3:6], s[6:7] offset:24 glc
	s_waitcnt vmcnt(0)
	buffer_wbinvl1_vol
	v_cmp_ne_u64_e32 vcc, v[8:9], v[5:6]
	s_and_saveexec_b64 s[10:11], vcc
	s_cbranch_execz .LBB8_329
; %bb.326:
	s_mov_b64 s[12:13], 0
.LBB8_327:                              ; =>This Inner Loop Header: Depth=1
	s_sleep 1
	global_load_dwordx2 v[3:4], v2, s[6:7] offset:40
	global_load_dwordx2 v[10:11], v2, s[6:7]
	v_mov_b32_e32 v5, v8
	v_mov_b32_e32 v6, v9
	s_waitcnt vmcnt(1)
	v_and_b32_e32 v3, v3, v5
	s_waitcnt vmcnt(0)
	v_mad_u64_u32 v[7:8], s[14:15], v3, 24, v[10:11]
	v_and_b32_e32 v4, v4, v6
	v_mov_b32_e32 v3, v8
	v_mad_u64_u32 v[3:4], s[14:15], v4, 24, v[3:4]
	v_mov_b32_e32 v8, v3
	global_load_dwordx2 v[3:4], v[7:8], off glc
	s_waitcnt vmcnt(0)
	global_atomic_cmpswap_x2 v[8:9], v2, v[3:6], s[6:7] offset:24 glc
	s_waitcnt vmcnt(0)
	buffer_wbinvl1_vol
	v_cmp_eq_u64_e32 vcc, v[8:9], v[5:6]
	s_or_b64 s[12:13], vcc, s[12:13]
	s_andn2_b64 exec, exec, s[12:13]
	s_cbranch_execnz .LBB8_327
; %bb.328:
	s_or_b64 exec, exec, s[12:13]
.LBB8_329:
	s_or_b64 exec, exec, s[10:11]
.LBB8_330:
	s_or_b64 exec, exec, s[8:9]
	v_mov_b32_e32 v2, 0
	global_load_dwordx2 v[10:11], v2, s[6:7] offset:40
	global_load_dwordx4 v[4:7], v2, s[6:7]
	v_readfirstlane_b32 s9, v9
	v_readfirstlane_b32 s8, v8
	s_mov_b64 s[10:11], exec
	s_waitcnt vmcnt(1)
	v_readfirstlane_b32 s12, v10
	v_readfirstlane_b32 s13, v11
	s_and_b64 s[12:13], s[12:13], s[8:9]
	s_mul_i32 s14, s13, 24
	s_mul_hi_u32 s15, s12, 24
	s_mul_i32 s16, s12, 24
	s_add_i32 s14, s15, s14
	v_mov_b32_e32 v3, s14
	s_waitcnt vmcnt(0)
	v_add_co_u32_e32 v8, vcc, s16, v4
	v_addc_co_u32_e32 v9, vcc, v5, v3, vcc
	s_and_saveexec_b64 s[14:15], s[4:5]
	s_cbranch_execz .LBB8_332
; %bb.331:
	v_mov_b32_e32 v10, s10
	v_mov_b32_e32 v11, s11
	v_mov_b32_e32 v12, 2
	v_mov_b32_e32 v13, 1
	global_store_dwordx4 v[8:9], v[10:13], off offset:8
.LBB8_332:
	s_or_b64 exec, exec, s[14:15]
	s_lshl_b64 s[10:11], s[12:13], 12
	v_mov_b32_e32 v3, s11
	v_add_co_u32_e32 v6, vcc, s10, v6
	v_addc_co_u32_e32 v7, vcc, v7, v3, vcc
	s_movk_i32 s10, 0xff1d
	v_and_or_b32 v0, v0, s10, 34
	s_mov_b32 s12, 0
	v_mov_b32_e32 v3, v2
	v_readfirstlane_b32 s10, v6
	v_readfirstlane_b32 s11, v7
	s_mov_b32 s13, s12
	s_mov_b32 s14, s12
	;; [unrolled: 1-line block ×3, first 2 shown]
	s_nop 1
	global_store_dwordx4 v29, v[0:3], s[10:11]
	s_nop 0
	v_mov_b32_e32 v0, s12
	v_mov_b32_e32 v1, s13
	;; [unrolled: 1-line block ×4, first 2 shown]
	global_store_dwordx4 v29, v[0:3], s[10:11] offset:16
	global_store_dwordx4 v29, v[0:3], s[10:11] offset:32
	global_store_dwordx4 v29, v[0:3], s[10:11] offset:48
	s_and_saveexec_b64 s[10:11], s[4:5]
	s_cbranch_execz .LBB8_340
; %bb.333:
	v_mov_b32_e32 v6, 0
	global_load_dwordx2 v[12:13], v6, s[6:7] offset:32 glc
	global_load_dwordx2 v[0:1], v6, s[6:7] offset:40
	v_mov_b32_e32 v10, s8
	v_mov_b32_e32 v11, s9
	s_waitcnt vmcnt(0)
	v_readfirstlane_b32 s12, v0
	v_readfirstlane_b32 s13, v1
	s_and_b64 s[12:13], s[12:13], s[8:9]
	s_mul_i32 s13, s13, 24
	s_mul_hi_u32 s14, s12, 24
	s_mul_i32 s12, s12, 24
	s_add_i32 s13, s14, s13
	v_mov_b32_e32 v0, s13
	v_add_co_u32_e32 v4, vcc, s12, v4
	v_addc_co_u32_e32 v5, vcc, v5, v0, vcc
	global_store_dwordx2 v[4:5], v[12:13], off
	s_waitcnt vmcnt(0)
	global_atomic_cmpswap_x2 v[2:3], v6, v[10:13], s[6:7] offset:32 glc
	s_waitcnt vmcnt(0)
	v_cmp_ne_u64_e32 vcc, v[2:3], v[12:13]
	s_and_saveexec_b64 s[12:13], vcc
	s_cbranch_execz .LBB8_336
; %bb.334:
	s_mov_b64 s[14:15], 0
.LBB8_335:                              ; =>This Inner Loop Header: Depth=1
	s_sleep 1
	global_store_dwordx2 v[4:5], v[2:3], off
	v_mov_b32_e32 v0, s8
	v_mov_b32_e32 v1, s9
	s_waitcnt vmcnt(0)
	global_atomic_cmpswap_x2 v[0:1], v6, v[0:3], s[6:7] offset:32 glc
	s_waitcnt vmcnt(0)
	v_cmp_eq_u64_e32 vcc, v[0:1], v[2:3]
	v_mov_b32_e32 v3, v1
	s_or_b64 s[14:15], vcc, s[14:15]
	v_mov_b32_e32 v2, v0
	s_andn2_b64 exec, exec, s[14:15]
	s_cbranch_execnz .LBB8_335
.LBB8_336:
	s_or_b64 exec, exec, s[12:13]
	v_mov_b32_e32 v3, 0
	global_load_dwordx2 v[0:1], v3, s[6:7] offset:16
	s_mov_b64 s[12:13], exec
	v_mbcnt_lo_u32_b32 v2, s12, 0
	v_mbcnt_hi_u32_b32 v2, s13, v2
	v_cmp_eq_u32_e32 vcc, 0, v2
	s_and_saveexec_b64 s[14:15], vcc
	s_cbranch_execz .LBB8_338
; %bb.337:
	s_bcnt1_i32_b64 s12, s[12:13]
	v_mov_b32_e32 v2, s12
	s_waitcnt vmcnt(0)
	global_atomic_add_x2 v[0:1], v[2:3], off offset:8
.LBB8_338:
	s_or_b64 exec, exec, s[14:15]
	s_waitcnt vmcnt(0)
	global_load_dwordx2 v[2:3], v[0:1], off offset:16
	s_waitcnt vmcnt(0)
	v_cmp_eq_u64_e32 vcc, 0, v[2:3]
	s_cbranch_vccnz .LBB8_340
; %bb.339:
	global_load_dword v0, v[0:1], off offset:24
	v_mov_b32_e32 v1, 0
	s_waitcnt vmcnt(0)
	v_readfirstlane_b32 s12, v0
	s_and_b32 m0, s12, 0xffffff
	global_store_dwordx2 v[2:3], v[0:1], off
	s_sendmsg sendmsg(MSG_INTERRUPT)
.LBB8_340:
	s_or_b64 exec, exec, s[10:11]
	s_branch .LBB8_344
.LBB8_341:                              ;   in Loop: Header=BB8_344 Depth=1
	s_or_b64 exec, exec, s[10:11]
	v_readfirstlane_b32 s10, v0
	s_cmp_eq_u32 s10, 0
	s_cbranch_scc1 .LBB8_343
; %bb.342:                              ;   in Loop: Header=BB8_344 Depth=1
	s_sleep 1
	s_cbranch_execnz .LBB8_344
	s_branch .LBB8_346
.LBB8_343:
	s_branch .LBB8_346
.LBB8_344:                              ; =>This Inner Loop Header: Depth=1
	v_mov_b32_e32 v0, 1
	s_and_saveexec_b64 s[10:11], s[4:5]
	s_cbranch_execz .LBB8_341
; %bb.345:                              ;   in Loop: Header=BB8_344 Depth=1
	global_load_dword v0, v[8:9], off offset:20 glc
	s_waitcnt vmcnt(0)
	buffer_wbinvl1_vol
	v_and_b32_e32 v0, 1, v0
	s_branch .LBB8_341
.LBB8_346:
	s_and_saveexec_b64 s[10:11], s[4:5]
	s_cbranch_execz .LBB8_349
; %bb.347:
	v_mov_b32_e32 v6, 0
	global_load_dwordx2 v[0:1], v6, s[6:7] offset:40
	global_load_dwordx2 v[9:10], v6, s[6:7] offset:24 glc
	global_load_dwordx2 v[2:3], v6, s[6:7]
	s_waitcnt vmcnt(2)
	v_readfirstlane_b32 s12, v0
	v_readfirstlane_b32 s13, v1
	s_add_u32 s14, s12, 1
	s_addc_u32 s15, s13, 0
	s_add_u32 s4, s14, s8
	s_addc_u32 s5, s15, s9
	s_cmp_eq_u64 s[4:5], 0
	s_cselect_b32 s5, s15, s5
	s_cselect_b32 s4, s14, s4
	s_and_b64 s[8:9], s[4:5], s[12:13]
	s_mul_i32 s9, s9, 24
	s_mul_hi_u32 s12, s8, 24
	s_mul_i32 s8, s8, 24
	s_add_i32 s9, s12, s9
	v_mov_b32_e32 v0, s9
	s_waitcnt vmcnt(0)
	v_add_co_u32_e32 v4, vcc, s8, v2
	v_addc_co_u32_e32 v5, vcc, v3, v0, vcc
	v_mov_b32_e32 v7, s4
	global_store_dwordx2 v[4:5], v[9:10], off
	v_mov_b32_e32 v8, s5
	s_waitcnt vmcnt(0)
	global_atomic_cmpswap_x2 v[2:3], v6, v[7:10], s[6:7] offset:24 glc
	s_mov_b64 s[8:9], 0
	s_waitcnt vmcnt(0)
	v_cmp_ne_u64_e32 vcc, v[2:3], v[9:10]
	s_and_b64 exec, exec, vcc
	s_cbranch_execz .LBB8_349
.LBB8_348:                              ; =>This Inner Loop Header: Depth=1
	s_sleep 1
	global_store_dwordx2 v[4:5], v[2:3], off
	v_mov_b32_e32 v0, s4
	v_mov_b32_e32 v1, s5
	s_waitcnt vmcnt(0)
	global_atomic_cmpswap_x2 v[0:1], v6, v[0:3], s[6:7] offset:24 glc
	s_waitcnt vmcnt(0)
	v_cmp_eq_u64_e32 vcc, v[0:1], v[2:3]
	v_mov_b32_e32 v3, v1
	s_or_b64 s[8:9], vcc, s[8:9]
	v_mov_b32_e32 v2, v0
	s_andn2_b64 exec, exec, s[8:9]
	s_cbranch_execnz .LBB8_348
.LBB8_349:
	s_or_b64 exec, exec, s[10:11]
.LBB8_350:
	s_add_u32 s8, s44, 0x58
	s_addc_u32 s9, s45, 0
	s_getpc_b64 s[4:5]
	s_add_u32 s4, s4, .str.29@rel32@lo+4
	s_addc_u32 s5, s5, .str.29@rel32@hi+12
	s_getpc_b64 s[6:7]
	s_add_u32 s6, s6, .str.19@rel32@lo+4
	s_addc_u32 s7, s7, .str.19@rel32@hi+12
	s_getpc_b64 s[10:11]
	s_add_u32 s10, s10, __PRETTY_FUNCTION__._ZN7VecsMemIjLi8192EE5fetchEi@rel32@lo+4
	s_addc_u32 s11, s11, __PRETTY_FUNCTION__._ZN7VecsMemIjLi8192EE5fetchEi@rel32@hi+12
	s_getpc_b64 s[12:13]
	s_add_u32 s12, s12, __assert_fail@rel32@lo+4
	s_addc_u32 s13, s13, __assert_fail@rel32@hi+12
	s_waitcnt vmcnt(0)
	v_mov_b32_e32 v0, s4
	v_mov_b32_e32 v1, s5
	;; [unrolled: 1-line block ×7, first 2 shown]
	s_swappc_b64 s[30:31], s[12:13]
	s_or_b64 s[4:5], s[72:73], exec
.LBB8_351:
	s_or_b64 exec, exec, s[34:35]
	s_andn2_b64 s[6:7], s[72:73], exec
	s_and_b64 s[4:5], s[4:5], exec
	s_or_b64 s[10:11], s[6:7], s[4:5]
	s_orn2_b64 s[4:5], s[28:29], exec
.LBB8_352:
	s_or_b64 exec, exec, s[26:27]
	s_mov_b64 s[6:7], s[98:99]
	s_and_saveexec_b64 s[56:57], s[4:5]
	s_cbranch_execz .LBB8_376
; %bb.353:
	s_mov_b64 s[4:5], src_private_base
	v_cmp_ne_u32_e32 vcc, -1, v44
	v_mov_b32_e32 v1, s5
	v_cndmask_b32_e32 v0, 0, v44, vcc
	v_cndmask_b32_e32 v1, 0, v1, vcc
	v_cmp_lt_i32_e32 vcc, 0, v42
	buffer_store_dword v1, off, s[0:3], 0 offset:20
	buffer_store_dword v0, off, s[0:3], 0 offset:16
	s_and_saveexec_b64 s[4:5], vcc
	s_cbranch_execz .LBB8_357
; %bb.354:
	s_mov_b32 s8, 28
	s_mov_b64 s[6:7], 0
	v_mov_b32_e32 v0, v42
.LBB8_355:                              ; =>This Inner Loop Header: Depth=1
	v_mov_b32_e32 v1, s8
	buffer_load_dword v1, v1, s[0:3], 0 offen
	v_add_u32_e32 v0, -1, v0
	s_add_i32 s8, s8, 4
	v_cmp_eq_u32_e32 vcc, 0, v0
	s_or_b64 s[6:7], vcc, s[6:7]
	s_waitcnt vmcnt(0)
	v_lshrrev_b32_e32 v2, 1, v1
	v_or_b32_e32 v2, v2, v1
	v_and_b32_e32 v2, 0x55555555, v2
	v_lshl_add_u32 v2, v2, 1, v2
	v_xor_b32_e32 v1, v2, v1
	buffer_store_dword v1, v44, s[0:3], 0 offen
	v_add_u32_e32 v44, 4, v44
	s_andn2_b64 exec, exec, s[6:7]
	s_cbranch_execnz .LBB8_355
; %bb.356:
	s_or_b64 exec, exec, s[6:7]
	buffer_store_dword v42, off, s[0:3], 0 offset:12
.LBB8_357:
	v_writelane_b32 v45, s56, 33
	v_writelane_b32 v45, s57, 34
	;; [unrolled: 1-line block ×22, first 2 shown]
	s_or_b64 exec, exec, s[4:5]
	s_mov_b64 s[4:5], src_private_base
	s_add_u32 s8, s44, 0x58
	v_readlane_b32 s10, v45, 31
	s_addc_u32 s9, s45, 0
	v_mov_b32_e32 v0, 8
	v_mov_b32_e32 v1, s5
	v_readlane_b32 s11, v45, 32
	v_lshlrev_b32_e32 v2, 1, v41
	s_getpc_b64 s[6:7]
	s_add_u32 s6, s6, _ZN3sop12sopFactorRecEPNS_3SopEiP7VecsMemIjLi8192EEPN8subgUtil4SubgILi256EEE@rel32@lo+4
	s_addc_u32 s7, s7, _ZN3sop12sopFactorRecEPNS_3SopEiP7VecsMemIjLi8192EEPN8subgUtil4SubgILi256EEE@rel32@hi+12
	v_mov_b32_e32 v3, 24
	v_mov_b32_e32 v4, s11
	;; [unrolled: 1-line block ×4, first 2 shown]
	s_or_saveexec_b64 s[100:101], -1
	s_mov_b32 s4, 0x220e00
	buffer_store_dword v45, off, s[0:3], s4 ; 4-byte Folded Spill
	s_mov_b64 exec, s[100:101]
	s_swappc_b64 s[30:31], s[6:7]
	s_or_saveexec_b64 s[100:101], -1
	s_mov_b32 s4, 0x220e00
	buffer_load_dword v45, off, s[0:3], s4  ; 4-byte Folded Reload
	s_mov_b64 exec, s[100:101]
	s_waitcnt vmcnt(0)
	v_readlane_b32 s54, v45, 35
	v_ashrrev_i32_e32 v1, 1, v0
	v_readlane_b32 s55, v45, 36
	v_cmp_ge_i32_e32 vcc, v1, v41
	s_mov_b64 s[26:27], s[98:99]
	s_mov_b64 s[28:29], s[54:55]
	s_and_saveexec_b64 s[4:5], vcc
	v_readlane_b32 s46, v45, 9
	v_readlane_b32 s64, v45, 51
	;; [unrolled: 1-line block ×11, first 2 shown]
	s_xor_b64 s[34:35], exec, s[4:5]
	v_readlane_b32 s47, v45, 10
	v_readlane_b32 s65, v45, 52
	;; [unrolled: 1-line block ×11, first 2 shown]
	s_cbranch_execz .LBB8_365
; %bb.358:
	s_mov_b64 s[4:5], -1
	s_mov_b64 s[6:7], s[54:55]
	s_mov_b64 s[26:27], exec
	v_readlane_b32 s8, v45, 27
	v_readlane_b32 s9, v45, 28
	s_and_b64 s[8:9], s[26:27], s[8:9]
	s_mov_b64 exec, s[8:9]
	s_cbranch_execz .LBB8_364
; %bb.359:
	v_mov_b32_e32 v1, 0x8020
	buffer_load_dword v0, v1, s[0:3], 0 offen
	v_mov_b32_e32 v1, 0x8020
	s_mov_b64 s[28:29], 0
	s_waitcnt vmcnt(0)
	v_lshl_add_u32 v2, v0, 3, v1
	buffer_load_dword v0, v2, s[0:3], 0 offen
	buffer_load_dword v1, v2, s[0:3], 0 offen offset:4
	s_waitcnt vmcnt(1)
	v_lshrrev_b32_e32 v3, 1, v0
	s_waitcnt vmcnt(0)
	v_cmp_lt_i64_e32 vcc, -1, v[0:1]
	v_cmp_ge_i32_e64 s[4:5], v3, v1
	s_and_b64 s[4:5], vcc, s[4:5]
	s_and_saveexec_b64 s[6:7], s[4:5]
	s_xor_b64 s[4:5], exec, s[6:7]
	s_cbranch_execz .LBB8_361
; %bb.360:
	s_mov_b64 s[28:29], exec
	v_xor_b32_e32 v0, 1, v0
	buffer_store_dword v1, v2, s[0:3], 0 offen offset:4
	buffer_store_dword v0, v2, s[0:3], 0 offen
.LBB8_361:
	s_or_saveexec_b64 s[36:37], s[4:5]
	s_mov_b64 s[4:5], s[54:55]
	s_xor_b64 exec, exec, s[36:37]
	s_cbranch_execz .LBB8_363
; %bb.362:
	v_readlane_b32 s4, v45, 29
	v_readlane_b32 s5, v45, 30
	s_add_u32 s8, s4, 0x58
	s_addc_u32 s9, s5, 0
	s_getpc_b64 s[4:5]
	s_add_u32 s4, s4, .str.46@rel32@lo+4
	s_addc_u32 s5, s5, .str.46@rel32@hi+12
	s_getpc_b64 s[6:7]
	s_add_u32 s6, s6, .str.44@rel32@lo+4
	s_addc_u32 s7, s7, .str.44@rel32@hi+12
	s_getpc_b64 s[10:11]
	s_add_u32 s10, s10, __PRETTY_FUNCTION__._ZN8subgUtil18formAndNodeKeyFlagEiii@rel32@lo+4
	s_addc_u32 s11, s11, __PRETTY_FUNCTION__._ZN8subgUtil18formAndNodeKeyFlagEiii@rel32@hi+12
	s_getpc_b64 s[12:13]
	s_add_u32 s12, s12, __assert_fail@rel32@lo+4
	s_addc_u32 s13, s13, __assert_fail@rel32@hi+12
	v_mov_b32_e32 v0, s4
	v_mov_b32_e32 v1, s5
	;; [unrolled: 1-line block ×7, first 2 shown]
	s_swappc_b64 s[30:31], s[12:13]
	s_or_b64 s[4:5], s[54:55], exec
.LBB8_363:
	s_or_b64 exec, exec, s[36:37]
	s_andn2_b64 s[6:7], s[54:55], exec
	s_and_b64 s[4:5], s[4:5], exec
	s_or_b64 s[6:7], s[6:7], s[4:5]
	s_orn2_b64 s[4:5], s[28:29], exec
.LBB8_364:
	s_or_b64 exec, exec, s[26:27]
	s_andn2_b64 s[8:9], s[54:55], exec
	s_and_b64 s[6:7], s[6:7], exec
	s_or_b64 s[28:29], s[8:9], s[6:7]
	s_andn2_b64 s[6:7], s[98:99], exec
	s_and_b64 s[4:5], s[4:5], exec
	s_or_b64 s[26:27], s[6:7], s[4:5]
                                        ; implicit-def: $vgpr1
                                        ; implicit-def: $vgpr0
.LBB8_365:
	s_or_saveexec_b64 s[34:35], s[34:35]
	v_readlane_b32 s44, v45, 29
	v_readlane_b32 s45, v45, 30
	s_xor_b64 exec, exec, s[34:35]
	s_cbranch_execz .LBB8_375
; %bb.366:
	v_mov_b32_e32 v3, 0x8020
	buffer_load_dword v2, v3, s[0:3], 0 offen
	s_mov_b64 s[36:37], s[28:29]
	s_waitcnt vmcnt(0)
	v_cmp_ne_u32_e32 vcc, v2, v41
	s_and_saveexec_b64 s[4:5], vcc
	s_xor_b64 s[38:39], exec, s[4:5]
	s_cbranch_execz .LBB8_368
; %bb.367:
	s_add_u32 s8, s44, 0x58
	s_addc_u32 s9, s45, 0
	s_getpc_b64 s[4:5]
	s_add_u32 s4, s4, .str.32@rel32@lo+4
	s_addc_u32 s5, s5, .str.32@rel32@hi+12
	s_getpc_b64 s[6:7]
	s_add_u32 s6, s6, .str.31@rel32@lo+4
	s_addc_u32 s7, s7, .str.31@rel32@hi+12
	s_getpc_b64 s[10:11]
	s_add_u32 s10, s10, __PRETTY_FUNCTION__._ZN3sop9sopFactorEPjiiPKiiP7VecsMemIjLi8192EEPN8subgUtil4SubgILi256EEE@rel32@lo+4
	s_addc_u32 s11, s11, __PRETTY_FUNCTION__._ZN3sop9sopFactorEPjiiPKiiP7VecsMemIjLi8192EEPN8subgUtil4SubgILi256EEE@rel32@hi+12
	s_getpc_b64 s[12:13]
	s_add_u32 s12, s12, __assert_fail@rel32@lo+4
	s_addc_u32 s13, s13, __assert_fail@rel32@hi+12
	v_mov_b32_e32 v0, s4
	v_mov_b32_e32 v1, s5
	;; [unrolled: 1-line block ×7, first 2 shown]
	s_swappc_b64 s[30:31], s[12:13]
	s_or_b64 s[36:37], s[28:29], exec
                                        ; implicit-def: $vgpr1
                                        ; implicit-def: $vgpr0
.LBB8_368:
	s_or_saveexec_b64 s[38:39], s[38:39]
	s_mov_b64 s[4:5], s[26:27]
	s_xor_b64 exec, exec, s[38:39]
	s_cbranch_execz .LBB8_374
; %bb.369:
	s_mov_b32 s4, 0x220c00
	buffer_load_dword v2, off, s[0:3], s4   ; 4-byte Folded Reload
	buffer_load_dword v3, off, s[0:3], s4 offset:4 ; 4-byte Folded Reload
	s_mov_b64 s[40:41], s[26:27]
	s_waitcnt vmcnt(0)
	v_mov_b32_e32 v3, v2
	v_ashrrev_i32_e32 v4, 31, v3
	buffer_store_dword v2, off, s[0:3], s4  ; 4-byte Folded Spill
	s_nop 0
	buffer_store_dword v3, off, s[0:3], s4 offset:4 ; 4-byte Folded Spill
	v_readlane_b32 s4, v45, 11
	v_readlane_b32 s5, v45, 12
	;; [unrolled: 1-line block ×16, first 2 shown]
	v_lshlrev_b64 v[2:3], 2, v[3:4]
	v_mov_b32_e32 v4, s5
	v_add_co_u32_e32 v5, vcc, s4, v2
	v_ashrrev_i32_e32 v2, 31, v1
	v_lshlrev_b64 v[1:2], 2, v[1:2]
	v_addc_co_u32_e32 v3, vcc, v4, v3, vcc
	v_add_co_u32_e32 v1, vcc, v5, v1
	v_addc_co_u32_e32 v2, vcc, v3, v2, vcc
	global_load_dword v1, v[1:2], off
	s_waitcnt vmcnt(0)
	v_lshlrev_b32_e32 v1, 1, v1
	v_cmp_lt_i32_e32 vcc, -1, v1
	s_and_saveexec_b64 s[4:5], vcc
	s_xor_b64 s[4:5], exec, s[4:5]
	s_cbranch_execz .LBB8_371
; %bb.370:
	v_and_b32_e32 v0, 1, v0
	v_readlane_b32 s6, v45, 27
	v_cmp_eq_u32_e32 vcc, 1, v0
	v_readlane_b32 s7, v45, 28
	s_xor_b64 s[6:7], s[6:7], vcc
	v_add_u32_e32 v2, 1, v41
	v_mov_b32_e32 v3, 0x8020
	v_cndmask_b32_e64 v0, 0, 1, s[6:7]
	buffer_store_dword v2, v3, s[0:3], 0 offen
	v_mov_b32_e32 v2, 0x8020
	v_or_b32_e32 v1, v1, v0
	v_lshl_add_u32 v2, v41, 3, v2
	s_or_b64 s[40:41], s[26:27], exec
	v_lshl_or_b32 v0, v1, 1, v0
	buffer_store_dword v1, v2, s[0:3], 0 offen offset:12
	buffer_store_dword v0, v2, s[0:3], 0 offen offset:8
.LBB8_371:
	s_or_saveexec_b64 s[42:43], s[4:5]
	s_mov_b64 s[4:5], s[36:37]
	s_xor_b64 exec, exec, s[42:43]
	s_cbranch_execz .LBB8_373
; %bb.372:
	s_add_u32 s8, s44, 0x58
	s_addc_u32 s9, s45, 0
	s_getpc_b64 s[4:5]
	s_add_u32 s4, s4, .str.46@rel32@lo+4
	s_addc_u32 s5, s5, .str.46@rel32@hi+12
	s_getpc_b64 s[6:7]
	s_add_u32 s6, s6, .str.44@rel32@lo+4
	s_addc_u32 s7, s7, .str.44@rel32@hi+12
	s_getpc_b64 s[10:11]
	s_add_u32 s10, s10, __PRETTY_FUNCTION__._ZN8subgUtil18formAndNodeKeyFlagEiii@rel32@lo+4
	s_addc_u32 s11, s11, __PRETTY_FUNCTION__._ZN8subgUtil18formAndNodeKeyFlagEiii@rel32@hi+12
	s_getpc_b64 s[12:13]
	s_add_u32 s12, s12, __assert_fail@rel32@lo+4
	s_addc_u32 s13, s13, __assert_fail@rel32@hi+12
	v_mov_b32_e32 v0, s4
	v_mov_b32_e32 v1, s5
	v_mov_b32_e32 v2, s6
	v_mov_b32_e32 v3, s7
	v_mov_b32_e32 v4, 35
	v_mov_b32_e32 v5, s10
	v_mov_b32_e32 v6, s11
	s_swappc_b64 s[30:31], s[12:13]
	s_or_b64 s[4:5], s[36:37], exec
.LBB8_373:
	s_or_b64 exec, exec, s[42:43]
	s_andn2_b64 s[6:7], s[36:37], exec
	s_and_b64 s[4:5], s[4:5], exec
	s_or_b64 s[36:37], s[6:7], s[4:5]
	s_andn2_b64 s[4:5], s[26:27], exec
	s_and_b64 s[6:7], s[40:41], exec
	s_or_b64 s[4:5], s[4:5], s[6:7]
.LBB8_374:
	s_or_b64 exec, exec, s[38:39]
	s_andn2_b64 s[6:7], s[28:29], exec
	s_and_b64 s[8:9], s[36:37], exec
	s_or_b64 s[28:29], s[6:7], s[8:9]
	s_andn2_b64 s[6:7], s[26:27], exec
	s_and_b64 s[4:5], s[4:5], exec
	s_or_b64 s[26:27], s[6:7], s[4:5]
.LBB8_375:
	s_or_b64 exec, exec, s[34:35]
	s_andn2_b64 s[4:5], s[54:55], exec
	s_and_b64 s[6:7], s[28:29], exec
	s_or_b64 s[10:11], s[4:5], s[6:7]
	s_andn2_b64 s[4:5], s[98:99], exec
	s_and_b64 s[6:7], s[26:27], exec
	s_or_b64 s[6:7], s[4:5], s[6:7]
.LBB8_376:
	s_or_b64 exec, exec, s[56:57]
	s_andn2_b64 s[4:5], s[72:73], exec
	s_and_b64 s[8:9], s[10:11], exec
	s_or_b64 s[26:27], s[4:5], s[8:9]
	s_andn2_b64 s[4:5], s[98:99], exec
	s_and_b64 s[6:7], s[6:7], exec
	s_or_b64 s[98:99], s[4:5], s[6:7]
	s_andn2_b64 s[48:49], s[48:49], exec
	s_or_b64 exec, exec, s[52:53]
	s_and_saveexec_b64 s[4:5], s[48:49]
	s_cbranch_execz .LBB8_382
.LBB8_377:
	v_add_u32_e32 v0, 1, v41
	v_mov_b32_e32 v1, 0x8020
	buffer_store_dword v0, v1, s[0:3], 0 offen
	v_mov_b32_e32 v0, 0x8020
	v_lshl_add_u32 v0, v41, 3, v0
	s_mov_b64 s[6:7], exec
	v_readlane_b32 s8, v45, 2
	v_readlane_b32 s9, v45, 3
	s_and_b64 s[8:9], s[6:7], s[8:9]
	s_xor_b64 s[6:7], s[8:9], s[6:7]
	s_mov_b64 exec, s[8:9]
	s_cbranch_execz .LBB8_379
; %bb.378:
	v_mov_b32_e32 v1, 1
	buffer_store_dword v1, v0, s[0:3], 0 offen offset:12
	v_mov_b32_e32 v1, 3
	buffer_store_dword v1, v0, s[0:3], 0 offen offset:8
                                        ; implicit-def: $vgpr0
.LBB8_379:
	s_andn2_saveexec_b64 s[6:7], s[6:7]
	s_cbranch_execz .LBB8_381
; %bb.380:
	v_mov_b32_e32 v1, 0
	buffer_store_dword v1, v0, s[0:3], 0 offen offset:12
	buffer_store_dword v1, v0, s[0:3], 0 offen offset:8
.LBB8_381:
	s_or_b64 exec, exec, s[6:7]
	s_or_b64 s[98:99], s[98:99], exec
.LBB8_382:
	s_or_b64 exec, exec, s[4:5]
	s_mov_b64 s[4:5], 0
	s_mov_b64 s[6:7], 0
	;; [unrolled: 1-line block ×3, first 2 shown]
	s_and_saveexec_b64 s[28:29], s[98:99]
	s_cbranch_execz .LBB8_410
; %bb.383:
	v_readlane_b32 s4, v45, 27
	v_mov_b32_e32 v0, 0x8020
	v_readlane_b32 s5, v45, 28
	s_waitcnt vmcnt(0)
	s_barrier
	buffer_load_dword v5, v0, s[0:3], 0 offen
	v_cndmask_b32_e64 v0, 0, 1, s[4:5]
	v_readlane_b32 s4, v45, 11
	s_mov_b32 s4, 0x220a00
	s_nop 3
	buffer_load_dword v1, off, s[0:3], s4   ; 4-byte Folded Reload
	buffer_load_dword v2, off, s[0:3], s4 offset:4 ; 4-byte Folded Reload
	v_readlane_b32 s12, v45, 19
	v_readlane_b32 s13, v45, 20
	v_mov_b32_e32 v4, s13
	s_mov_b64 s[34:35], s[26:27]
	v_readlane_b32 s5, v45, 12
	v_readlane_b32 s6, v45, 13
	;; [unrolled: 1-line block ×13, first 2 shown]
	s_waitcnt vmcnt(2)
	v_sub_u32_e32 v6, v5, v41
	s_waitcnt vmcnt(1)
	v_lshl_or_b32 v0, v1, 1, v0
	v_ashrrev_i32_e32 v1, 31, v0
	s_waitcnt vmcnt(0)
	v_lshlrev_b64 v[1:2], 2, v[0:1]
	v_add_co_u32_e32 v3, vcc, s12, v1
	v_addc_co_u32_e32 v4, vcc, v4, v2, vcc
	v_cmp_gt_i32_e32 vcc, 1, v6
	global_store_dword v[3:4], v6, off
	s_and_saveexec_b64 s[4:5], vcc
	s_xor_b64 s[36:37], exec, s[4:5]
	s_cbranch_execz .LBB8_385
; %bb.384:
	s_add_u32 s8, s44, 0x58
	s_addc_u32 s9, s45, 0
	s_getpc_b64 s[4:5]
	s_add_u32 s4, s4, .str.13@rel32@lo+4
	s_addc_u32 s5, s5, .str.13@rel32@hi+12
	s_getpc_b64 s[6:7]
	s_add_u32 s6, s6, .str.1@rel32@lo+4
	s_addc_u32 s7, s7, .str.1@rel32@hi+12
	s_getpc_b64 s[10:11]
	s_add_u32 s10, s10, __PRETTY_FUNCTION__._Z15factorFromTruthPKiS0_PyPiS2_S2_PKjS4_S0_S4_i@rel32@lo+4
	s_addc_u32 s11, s11, __PRETTY_FUNCTION__._Z15factorFromTruthPKiS0_PyPiS2_S2_PKjS4_S0_S4_i@rel32@hi+12
	s_getpc_b64 s[12:13]
	s_add_u32 s12, s12, __assert_fail@rel32@lo+4
	s_addc_u32 s13, s13, __assert_fail@rel32@hi+12
	v_mov_b32_e32 v0, s4
	v_mov_b32_e32 v1, s5
	;; [unrolled: 1-line block ×7, first 2 shown]
	s_swappc_b64 s[30:31], s[12:13]
	s_or_b64 s[34:35], s[26:27], exec
                                        ; implicit-def: $vgpr3
	s_mov_b32 s4, 0x220c00
                                        ; implicit-def: $vgpr1_vgpr2
                                        ; implicit-def: $vgpr5
                                        ; implicit-def: $vgpr41
                                        ; implicit-def: $vgpr0
                                        ; implicit-def: $vgpr43
	buffer_store_dword v3, off, s[0:3], s4  ; 4-byte Folded Spill
	s_nop 0
	buffer_store_dword v4, off, s[0:3], s4 offset:4 ; 4-byte Folded Spill
.LBB8_385:
	s_or_saveexec_b64 s[36:37], s[36:37]
	s_mov_b64 s[4:5], 0
	s_mov_b64 s[6:7], 0
	;; [unrolled: 1-line block ×3, first 2 shown]
	s_xor_b64 exec, exec, s[36:37]
	s_cbranch_execz .LBB8_409
; %bb.386:
	v_readlane_b32 s4, v45, 11
	v_readlane_b32 s10, v45, 17
	;; [unrolled: 1-line block ×3, first 2 shown]
	v_mov_b32_e32 v3, s11
	v_add_co_u32_e32 v1, vcc, s10, v1
	v_addc_co_u32_e32 v2, vcc, v3, v2, vcc
	global_load_dword v3, v[1:2], off
	v_readlane_b32 s5, v45, 12
	s_mov_b64 s[4:5], s[34:35]
	v_readlane_b32 s6, v45, 13
	v_readlane_b32 s7, v45, 14
	;; [unrolled: 1-line block ×12, first 2 shown]
	s_waitcnt vmcnt(0)
	v_cmp_ne_u32_e32 vcc, -1, v3
	s_and_saveexec_b64 s[6:7], vcc
	s_xor_b64 s[38:39], exec, s[6:7]
	s_cbranch_execz .LBB8_388
; %bb.387:
	s_add_u32 s8, s44, 0x58
	s_addc_u32 s9, s45, 0
	s_getpc_b64 s[4:5]
	s_add_u32 s4, s4, .str.11@rel32@lo+4
	s_addc_u32 s5, s5, .str.11@rel32@hi+12
	s_getpc_b64 s[6:7]
	s_add_u32 s6, s6, .str.1@rel32@lo+4
	s_addc_u32 s7, s7, .str.1@rel32@hi+12
	s_getpc_b64 s[10:11]
	s_add_u32 s10, s10, __PRETTY_FUNCTION__._Z15factorFromTruthPKiS0_PyPiS2_S2_PKjS4_S0_S4_i@rel32@lo+4
	s_addc_u32 s11, s11, __PRETTY_FUNCTION__._Z15factorFromTruthPKiS0_PyPiS2_S2_PKjS4_S0_S4_i@rel32@hi+12
	s_getpc_b64 s[12:13]
	s_add_u32 s12, s12, __assert_fail@rel32@lo+4
	s_addc_u32 s13, s13, __assert_fail@rel32@hi+12
	v_mov_b32_e32 v0, s4
	v_mov_b32_e32 v1, s5
	;; [unrolled: 1-line block ×7, first 2 shown]
	s_swappc_b64 s[30:31], s[12:13]
	s_or_b64 s[4:5], s[34:35], exec
                                        ; implicit-def: $vgpr3
	s_mov_b32 s6, 0x220c00
                                        ; implicit-def: $vgpr1_vgpr2
                                        ; implicit-def: $vgpr5
                                        ; implicit-def: $vgpr41
                                        ; implicit-def: $vgpr0
                                        ; implicit-def: $vgpr43
	buffer_store_dword v3, off, s[0:3], s6  ; 4-byte Folded Spill
	s_nop 0
	buffer_store_dword v4, off, s[0:3], s6 offset:4 ; 4-byte Folded Spill
.LBB8_388:
	s_or_saveexec_b64 s[6:7], s[38:39]
	s_mov_b64 s[8:9], 0
	s_mov_b64 s[10:11], 0
	;; [unrolled: 1-line block ×3, first 2 shown]
	s_xor_b64 exec, exec, s[6:7]
	s_cbranch_execz .LBB8_408
; %bb.389:
	v_mov_b32_e32 v6, 0
	v_cmp_gt_i32_e32 vcc, v5, v41
	s_mov_b64 s[16:17], -1
	s_mov_b64 s[12:13], 0
	global_store_dword v[1:2], v6, off
	s_and_saveexec_b64 s[10:11], vcc
	s_cbranch_execz .LBB8_405
; %bb.390:
	v_readlane_b32 s12, v45, 4
	s_lshl_b32 s33, s12, 2
	s_mov_b32 s12, 0x220c00
	s_nop 2
	buffer_load_dword v2, off, s[0:3], s12  ; 4-byte Folded Reload
	buffer_load_dword v3, off, s[0:3], s12 offset:4 ; 4-byte Folded Reload
	v_lshlrev_b32_e32 v1, 3, v43
	s_mov_b32 s12, 0x8020
	s_add_i32 s33, s33, -1
	s_mov_b64 s[16:17], 0
                                        ; implicit-def: $sgpr14_sgpr15
	s_waitcnt vmcnt(1)
	v_lshlrev_b32_e32 v2, 3, v2
	v_sub_u32_e32 v1, v1, v2
	v_add3_u32 v7, v1, s12, 8
	v_mov_b32_e32 v1, 0
                                        ; implicit-def: $sgpr12_sgpr13
	s_branch .LBB8_392
.LBB8_391:                              ;   in Loop: Header=BB8_392 Depth=1
	s_or_b64 exec, exec, s[22:23]
	s_xor_b64 s[20:21], s[20:21], -1
	s_xor_b64 s[18:19], s[18:19], -1
	s_and_b64 s[22:23], exec, s[24:25]
	s_or_b64 s[16:17], s[22:23], s[16:17]
	s_andn2_b64 s[12:13], s[12:13], exec
	s_and_b64 s[20:21], s[20:21], exec
	s_andn2_b64 s[14:15], s[14:15], exec
	s_and_b64 s[18:19], s[18:19], exec
	s_or_b64 s[12:13], s[12:13], s[20:21]
	s_or_b64 s[14:15], s[14:15], s[18:19]
	s_andn2_b64 exec, exec, s[16:17]
	s_cbranch_execz .LBB8_402
.LBB8_392:                              ; =>This Inner Loop Header: Depth=1
	v_cmp_eq_u32_e32 vcc, 8, v1
	s_mov_b64 s[30:31], -1
                                        ; implicit-def: $sgpr18_sgpr19
                                        ; implicit-def: $sgpr20_sgpr21
	s_and_saveexec_b64 s[22:23], vcc
	s_cbranch_execz .LBB8_400
; %bb.393:                              ;   in Loop: Header=BB8_392 Depth=1
	s_mov_b64 s[20:21], exec
	v_mbcnt_lo_u32_b32 v1, s20, 0
	v_mbcnt_hi_u32_b32 v1, s21, v1
	v_cmp_eq_u32_e32 vcc, 0, v1
                                        ; implicit-def: $vgpr2
	s_and_saveexec_b64 s[18:19], vcc
	s_cbranch_execz .LBB8_395
; %bb.394:                              ;   in Loop: Header=BB8_392 Depth=1
	s_bcnt1_i32_b64 s20, s[20:21]
	v_readlane_b32 s48, v45, 11
	v_mov_b32_e32 v2, s20
	v_readlane_b32 s58, v45, 21
	v_readlane_b32 s59, v45, 22
	;; [unrolled: 1-line block ×7, first 2 shown]
	global_atomic_add v2, v6, v2, s[58:59] glc
	v_readlane_b32 s54, v45, 17
	v_readlane_b32 s55, v45, 18
	;; [unrolled: 1-line block ×8, first 2 shown]
.LBB8_395:                              ;   in Loop: Header=BB8_392 Depth=1
	s_or_b64 exec, exec, s[18:19]
	s_waitcnt vmcnt(0)
	v_readfirstlane_b32 s18, v2
	v_add_u32_e32 v2, s18, v1
	v_cmp_gt_i32_e32 vcc, s33, v2
	s_mov_b64 s[18:19], -1
	s_mov_b64 s[30:31], 0
	s_mov_b64 s[20:21], 0
	s_and_saveexec_b64 s[24:25], vcc
	s_cbranch_execz .LBB8_399
; %bb.396:                              ;   in Loop: Header=BB8_392 Depth=1
	v_readlane_b32 s48, v45, 11
	v_ashrrev_i32_e32 v3, 31, v2
	v_readlane_b32 s49, v45, 12
	v_readlane_b32 s50, v45, 13
	;; [unrolled: 1-line block ×5, first 2 shown]
	v_lshlrev_b64 v[3:4], 2, v[2:3]
	v_readlane_b32 s54, v45, 17
	v_readlane_b32 s55, v45, 18
	s_mov_b64 s[48:49], s[52:53]
	s_mov_b64 s[50:51], s[54:55]
	v_mov_b32_e32 v1, s51
	v_add_co_u32_e32 v3, vcc, s50, v3
	v_addc_co_u32_e32 v4, vcc, v1, v4, vcc
	global_load_dword v1, v[3:4], off
	v_readlane_b32 s56, v45, 19
	v_readlane_b32 s57, v45, 20
	;; [unrolled: 1-line block ×8, first 2 shown]
	s_waitcnt vmcnt(0)
	v_cmp_eq_u32_e32 vcc, -1, v1
	s_and_saveexec_b64 s[18:19], vcc
	s_cbranch_execz .LBB8_398
; %bb.397:                              ;   in Loop: Header=BB8_392 Depth=1
	v_readlane_b32 s48, v45, 11
	v_ashrrev_i32_e32 v1, 31, v0
	v_readlane_b32 s49, v45, 12
	v_readlane_b32 s50, v45, 13
	;; [unrolled: 1-line block ×5, first 2 shown]
	v_lshlrev_b64 v[0:1], 2, v[0:1]
	v_readlane_b32 s54, v45, 17
	v_readlane_b32 s55, v45, 18
	s_mov_b64 s[48:49], s[52:53]
	s_mov_b64 s[50:51], s[54:55]
	v_mov_b32_e32 v8, s51
	v_add_co_u32_e32 v0, vcc, s50, v0
	s_mov_b64 s[30:31], exec
	v_addc_co_u32_e32 v1, vcc, v8, v1, vcc
	v_readlane_b32 s56, v45, 19
	v_readlane_b32 s57, v45, 20
	;; [unrolled: 1-line block ×8, first 2 shown]
	global_store_dword v[0:1], v2, off
	global_store_dword v[3:4], v6, off
.LBB8_398:                              ;   in Loop: Header=BB8_392 Depth=1
	s_or_b64 exec, exec, s[18:19]
	s_mov_b64 s[20:21], exec
	s_xor_b64 s[18:19], exec, -1
	s_and_b64 s[30:31], s[30:31], exec
.LBB8_399:                              ;   in Loop: Header=BB8_392 Depth=1
	s_or_b64 exec, exec, s[24:25]
	v_mov_b32_e32 v1, 0
	s_orn2_b64 s[30:31], s[30:31], exec
	v_mov_b32_e32 v0, v2
.LBB8_400:                              ;   in Loop: Header=BB8_392 Depth=1
	s_or_b64 exec, exec, s[22:23]
	s_mov_b64 s[24:25], -1
	s_and_saveexec_b64 s[22:23], s[30:31]
	s_cbranch_execz .LBB8_391
; %bb.401:                              ;   in Loop: Header=BB8_392 Depth=1
	buffer_load_dword v2, v7, s[0:3], 0 offen
	buffer_load_dword v3, v7, s[0:3], 0 offen offset:4
	v_lshl_add_u32 v8, v0, 3, v1
	v_readlane_b32 s48, v45, 11
	v_ashrrev_i32_e32 v9, 31, v8
	v_readlane_b32 s49, v45, 12
	v_readlane_b32 s50, v45, 13
	;; [unrolled: 1-line block ×5, first 2 shown]
	v_add_u32_e32 v41, 1, v41
	v_lshlrev_b64 v[8:9], 3, v[8:9]
	v_readlane_b32 s54, v45, 17
	v_readlane_b32 s55, v45, 18
	s_mov_b64 s[48:49], s[52:53]
	v_cmp_ge_i32_e32 vcc, v41, v5
	v_add_u32_e32 v4, 1, v1
	v_mov_b32_e32 v1, s49
	s_orn2_b64 s[24:25], vcc, exec
	v_add_co_u32_e32 v8, vcc, s48, v8
	v_add_u32_e32 v7, 8, v7
	s_andn2_b64 s[20:21], s[20:21], exec
	s_andn2_b64 s[18:19], s[18:19], exec
	v_addc_co_u32_e32 v9, vcc, v1, v9, vcc
	v_mov_b32_e32 v1, v4
	v_readlane_b32 s56, v45, 19
	v_readlane_b32 s57, v45, 20
	;; [unrolled: 1-line block ×8, first 2 shown]
	s_mov_b64 s[50:51], s[54:55]
	s_waitcnt vmcnt(0)
	global_store_dwordx2 v[8:9], v[2:3], off
	s_branch .LBB8_391
.LBB8_402:
	s_or_b64 exec, exec, s[16:17]
	s_mov_b64 s[16:17], 0
	s_mov_b64 s[20:21], -1
	s_mov_b64 s[18:19], 0
	s_and_saveexec_b64 s[22:23], s[14:15]
	s_xor_b64 s[14:15], exec, s[22:23]
; %bb.403:
	s_mov_b64 s[18:19], exec
	s_xor_b64 s[20:21], exec, -1
	s_and_b64 s[16:17], s[12:13], exec
; %bb.404:
	s_or_b64 exec, exec, s[14:15]
	s_and_b64 s[14:15], s[20:21], exec
	s_and_b64 s[12:13], s[18:19], exec
	s_orn2_b64 s[16:17], s[16:17], exec
.LBB8_405:
	s_or_b64 exec, exec, s[10:11]
	s_and_saveexec_b64 s[10:11], s[16:17]
	s_cbranch_execz .LBB8_407
; %bb.406:
	s_mov_b64 s[8:9], exec
	s_andn2_b64 s[12:13], s[12:13], exec
	s_waitcnt vmcnt(0)
	s_barrier
.LBB8_407:
	s_or_b64 exec, exec, s[10:11]
	s_and_b64 s[14:15], s[14:15], exec
	s_and_b64 s[10:11], s[12:13], exec
	;; [unrolled: 1-line block ×3, first 2 shown]
.LBB8_408:
	s_or_b64 exec, exec, s[6:7]
	s_andn2_b64 s[6:7], s[34:35], exec
	s_and_b64 s[4:5], s[4:5], exec
	s_or_b64 s[34:35], s[6:7], s[4:5]
	s_and_b64 s[12:13], s[14:15], exec
	s_and_b64 s[6:7], s[10:11], exec
	;; [unrolled: 1-line block ×3, first 2 shown]
.LBB8_409:
	s_or_b64 exec, exec, s[36:37]
	s_andn2_b64 s[8:9], s[26:27], exec
	s_and_b64 s[10:11], s[34:35], exec
	s_or_b64 s[26:27], s[8:9], s[10:11]
	s_and_b64 s[8:9], s[12:13], exec
	s_and_b64 s[6:7], s[6:7], exec
	;; [unrolled: 1-line block ×3, first 2 shown]
.LBB8_410:
	s_or_b64 exec, exec, s[28:29]
	s_andn2_b64 s[10:11], s[72:73], exec
	s_and_b64 s[12:13], s[26:27], exec
	s_or_b64 s[72:73], s[10:11], s[12:13]
	s_and_b64 s[8:9], s[8:9], exec
	s_and_b64 s[6:7], s[6:7], exec
	;; [unrolled: 1-line block ×3, first 2 shown]
.LBB8_411:
	s_or_b64 exec, exec, s[74:75]
	s_andn2_b64 s[10:11], s[68:69], exec
	s_and_b64 s[12:13], s[72:73], exec
	s_or_b64 s[68:69], s[10:11], s[12:13]
	s_andn2_b64 s[66:67], s[66:67], exec
	s_and_b64 s[10:11], s[8:9], exec
	s_and_b64 s[8:9], s[6:7], exec
	;; [unrolled: 1-line block ×3, first 2 shown]
.LBB8_412:
	s_or_b64 exec, exec, s[70:71]
	s_andn2_b64 s[4:5], s[76:77], exec
	s_and_b64 s[12:13], s[68:69], exec
	s_or_b64 s[76:77], s[4:5], s[12:13]
	s_and_b64 s[12:13], s[66:67], exec
	s_and_b64 s[10:11], s[10:11], exec
	;; [unrolled: 1-line block ×4, first 2 shown]
.LBB8_413:
	s_or_b64 exec, exec, s[64:65]
	v_readlane_b32 s6, v45, 5
	v_readlane_b32 s7, v45, 6
	s_andn2_b64 s[6:7], s[6:7], exec
	s_and_b64 s[14:15], s[76:77], exec
	s_or_b64 s[6:7], s[6:7], s[14:15]
	v_writelane_b32 v45, s6, 5
	v_writelane_b32 v45, s7, 6
	s_and_b64 s[12:13], s[12:13], exec
	s_and_b64 s[10:11], s[10:11], exec
	;; [unrolled: 1-line block ×4, first 2 shown]
.LBB8_414:
	v_readlane_b32 s4, v45, 7
	v_readlane_b32 s5, v45, 8
	s_or_b64 exec, exec, s[4:5]
	v_readlane_b32 s4, v45, 5
	v_readlane_b32 s5, v45, 6
	s_and_b64 s[26:27], s[4:5], exec
	s_and_b64 s[28:29], s[12:13], exec
	;; [unrolled: 1-line block ×4, first 2 shown]
	s_orn2_b64 s[6:7], s[34:35], exec
.LBB8_415:
	s_or_b64 exec, exec, s[46:47]
	s_and_saveexec_b64 s[8:9], s[6:7]
	s_or_b64 exec, exec, s[8:9]
	s_and_saveexec_b64 s[6:7], s[4:5]
	s_xor_b64 s[34:35], exec, s[6:7]
	s_cbranch_execnz .LBB8_420
; %bb.416:
	s_or_b64 exec, exec, s[34:35]
	s_and_saveexec_b64 s[4:5], s[36:37]
	s_xor_b64 s[34:35], exec, s[4:5]
	s_cbranch_execnz .LBB8_421
.LBB8_417:
	s_or_b64 exec, exec, s[34:35]
	s_and_saveexec_b64 s[34:35], s[28:29]
	s_cbranch_execnz .LBB8_422
.LBB8_418:
	s_or_b64 exec, exec, s[34:35]
	s_and_saveexec_b64 s[4:5], s[26:27]
	s_cbranch_execnz .LBB8_423
.LBB8_419:
	s_endpgm
.LBB8_420:
	s_add_u32 s8, s44, 0x58
	s_addc_u32 s9, s45, 0
	s_getpc_b64 s[4:5]
	s_add_u32 s4, s4, .str.11@rel32@lo+4
	s_addc_u32 s5, s5, .str.11@rel32@hi+12
	s_getpc_b64 s[6:7]
	s_add_u32 s6, s6, .str.1@rel32@lo+4
	s_addc_u32 s7, s7, .str.1@rel32@hi+12
	s_getpc_b64 s[10:11]
	s_add_u32 s10, s10, __PRETTY_FUNCTION__._Z15factorFromTruthPKiS0_PyPiS2_S2_PKjS4_S0_S4_i@rel32@lo+4
	s_addc_u32 s11, s11, __PRETTY_FUNCTION__._Z15factorFromTruthPKiS0_PyPiS2_S2_PKjS4_S0_S4_i@rel32@hi+12
	s_getpc_b64 s[12:13]
	s_add_u32 s12, s12, __assert_fail@rel32@lo+4
	s_addc_u32 s13, s13, __assert_fail@rel32@hi+12
	v_mov_b32_e32 v0, s4
	v_mov_b32_e32 v1, s5
	;; [unrolled: 1-line block ×3, first 2 shown]
	s_waitcnt vmcnt(0)
	v_mov_b32_e32 v3, s7
	v_mov_b32_e32 v4, 0x128
	;; [unrolled: 1-line block ×4, first 2 shown]
	s_swappc_b64 s[30:31], s[12:13]
	s_or_b64 s[26:27], s[26:27], exec
	s_or_b64 exec, exec, s[34:35]
	s_and_saveexec_b64 s[4:5], s[36:37]
	s_xor_b64 s[34:35], exec, s[4:5]
	s_cbranch_execz .LBB8_417
.LBB8_421:
	s_add_u32 s8, s44, 0x58
	s_addc_u32 s9, s45, 0
	s_getpc_b64 s[4:5]
	s_add_u32 s4, s4, .str.14@rel32@lo+4
	s_addc_u32 s5, s5, .str.14@rel32@hi+12
	s_getpc_b64 s[6:7]
	s_add_u32 s6, s6, .str.1@rel32@lo+4
	s_addc_u32 s7, s7, .str.1@rel32@hi+12
	s_getpc_b64 s[10:11]
	s_add_u32 s10, s10, __PRETTY_FUNCTION__._Z15factorFromTruthPKiS0_PyPiS2_S2_PKjS4_S0_S4_i@rel32@lo+4
	s_addc_u32 s11, s11, __PRETTY_FUNCTION__._Z15factorFromTruthPKiS0_PyPiS2_S2_PKjS4_S0_S4_i@rel32@hi+12
	s_getpc_b64 s[12:13]
	s_add_u32 s12, s12, __assert_fail@rel32@lo+4
	s_addc_u32 s13, s13, __assert_fail@rel32@hi+12
	v_mov_b32_e32 v0, s4
	v_mov_b32_e32 v1, s5
	;; [unrolled: 1-line block ×3, first 2 shown]
	s_waitcnt vmcnt(0)
	v_mov_b32_e32 v3, s7
	v_mov_b32_e32 v4, 0x127
	;; [unrolled: 1-line block ×4, first 2 shown]
	s_swappc_b64 s[30:31], s[12:13]
	s_or_b64 s[26:27], s[26:27], exec
	s_or_b64 exec, exec, s[34:35]
	s_and_saveexec_b64 s[34:35], s[28:29]
	s_cbranch_execz .LBB8_418
.LBB8_422:
	s_add_u32 s8, s44, 0x58
	s_addc_u32 s9, s45, 0
	s_getpc_b64 s[4:5]
	s_add_u32 s4, s4, .str.18@rel32@lo+4
	s_addc_u32 s5, s5, .str.18@rel32@hi+12
	s_getpc_b64 s[6:7]
	s_add_u32 s6, s6, .str.19@rel32@lo+4
	s_addc_u32 s7, s7, .str.19@rel32@hi+12
	s_getpc_b64 s[10:11]
	s_add_u32 s10, s10, __PRETTY_FUNCTION__._ZN7VecsMemIjLi8192EE6shrinkEi@rel32@lo+4
	s_addc_u32 s11, s11, __PRETTY_FUNCTION__._ZN7VecsMemIjLi8192EE6shrinkEi@rel32@hi+12
	s_getpc_b64 s[12:13]
	s_add_u32 s12, s12, __assert_fail@rel32@lo+4
	s_addc_u32 s13, s13, __assert_fail@rel32@hi+12
	v_mov_b32_e32 v0, s4
	v_mov_b32_e32 v1, s5
	;; [unrolled: 1-line block ×3, first 2 shown]
	s_waitcnt vmcnt(0)
	v_mov_b32_e32 v3, s7
	v_mov_b32_e32 v4, 20
	;; [unrolled: 1-line block ×4, first 2 shown]
	s_swappc_b64 s[30:31], s[12:13]
	s_or_b64 s[26:27], s[26:27], exec
	s_or_b64 exec, exec, s[34:35]
	s_and_saveexec_b64 s[4:5], s[26:27]
	s_cbranch_execz .LBB8_419
.LBB8_423:
	; divergent unreachable
	s_endpgm
	.section	.rodata,"a",@progbits
	.p2align	6, 0x0
	.amdhsa_kernel _Z15factorFromTruthPKiS0_PyPiS2_S2_PKjS4_S0_S4_i
		.amdhsa_group_segment_fixed_size 0
		.amdhsa_private_segment_fixed_size 35232
		.amdhsa_kernarg_size 344
		.amdhsa_user_sgpr_count 8
		.amdhsa_user_sgpr_private_segment_buffer 1
		.amdhsa_user_sgpr_dispatch_ptr 0
		.amdhsa_user_sgpr_queue_ptr 0
		.amdhsa_user_sgpr_kernarg_segment_ptr 1
		.amdhsa_user_sgpr_dispatch_id 0
		.amdhsa_user_sgpr_flat_scratch_init 1
		.amdhsa_user_sgpr_private_segment_size 0
		.amdhsa_uses_dynamic_stack 1
		.amdhsa_system_sgpr_private_segment_wavefront_offset 1
		.amdhsa_system_sgpr_workgroup_id_x 1
		.amdhsa_system_sgpr_workgroup_id_y 0
		.amdhsa_system_sgpr_workgroup_id_z 0
		.amdhsa_system_sgpr_workgroup_info 0
		.amdhsa_system_vgpr_workitem_id 0
		.amdhsa_next_free_vgpr 64
		.amdhsa_next_free_sgpr 102
		.amdhsa_reserve_vcc 1
		.amdhsa_reserve_flat_scratch 1
		.amdhsa_float_round_mode_32 0
		.amdhsa_float_round_mode_16_64 0
		.amdhsa_float_denorm_mode_32 3
		.amdhsa_float_denorm_mode_16_64 3
		.amdhsa_dx10_clamp 1
		.amdhsa_ieee_mode 1
		.amdhsa_fp16_overflow 0
		.amdhsa_exception_fp_ieee_invalid_op 0
		.amdhsa_exception_fp_denorm_src 0
		.amdhsa_exception_fp_ieee_div_zero 0
		.amdhsa_exception_fp_ieee_overflow 0
		.amdhsa_exception_fp_ieee_underflow 0
		.amdhsa_exception_fp_ieee_inexact 0
		.amdhsa_exception_int_div_zero 0
	.end_amdhsa_kernel
	.text
.Lfunc_end8:
	.size	_Z15factorFromTruthPKiS0_PyPiS2_S2_PKjS4_S0_S4_i, .Lfunc_end8-_Z15factorFromTruthPKiS0_PyPiS2_S2_PKjS4_S0_S4_i
                                        ; -- End function
	.set _Z15factorFromTruthPKiS0_PyPiS2_S2_PKjS4_S0_S4_i.num_vgpr, max(48, .L__assert_fail.num_vgpr, .L_ZN3sop13minatoIsopRecEPKjS1_iPNS_3SopEP7VecsMemIjLi8192EE.num_vgpr, .L_ZN3sop12sopFactorRecEPNS_3SopEiP7VecsMemIjLi8192EEPN8subgUtil4SubgILi256EEE.num_vgpr)
	.set _Z15factorFromTruthPKiS0_PyPiS2_S2_PKjS4_S0_S4_i.num_agpr, max(0, .L__assert_fail.num_agpr, .L_ZN3sop13minatoIsopRecEPKjS1_iPNS_3SopEP7VecsMemIjLi8192EE.num_agpr, .L_ZN3sop12sopFactorRecEPNS_3SopEiP7VecsMemIjLi8192EEPN8subgUtil4SubgILi256EEE.num_agpr)
	.set _Z15factorFromTruthPKiS0_PyPiS2_S2_PKjS4_S0_S4_i.numbered_sgpr, max(102, .L__assert_fail.numbered_sgpr, .L_ZN3sop13minatoIsopRecEPKjS1_iPNS_3SopEP7VecsMemIjLi8192EE.numbered_sgpr, .L_ZN3sop12sopFactorRecEPNS_3SopEiP7VecsMemIjLi8192EEPN8subgUtil4SubgILi256EEE.numbered_sgpr)
	.set _Z15factorFromTruthPKiS0_PyPiS2_S2_PKjS4_S0_S4_i.num_named_barrier, max(0, .L__assert_fail.num_named_barrier, .L_ZN3sop13minatoIsopRecEPKjS1_iPNS_3SopEP7VecsMemIjLi8192EE.num_named_barrier, .L_ZN3sop12sopFactorRecEPNS_3SopEiP7VecsMemIjLi8192EEPN8subgUtil4SubgILi256EEE.num_named_barrier)
	.set _Z15factorFromTruthPKiS0_PyPiS2_S2_PKjS4_S0_S4_i.private_seg_size, 34880+max(.L__assert_fail.private_seg_size, .L_ZN3sop13minatoIsopRecEPKjS1_iPNS_3SopEP7VecsMemIjLi8192EE.private_seg_size, .L_ZN3sop12sopFactorRecEPNS_3SopEiP7VecsMemIjLi8192EEPN8subgUtil4SubgILi256EEE.private_seg_size)
	.set _Z15factorFromTruthPKiS0_PyPiS2_S2_PKjS4_S0_S4_i.uses_vcc, or(1, .L__assert_fail.uses_vcc, .L_ZN3sop13minatoIsopRecEPKjS1_iPNS_3SopEP7VecsMemIjLi8192EE.uses_vcc, .L_ZN3sop12sopFactorRecEPNS_3SopEiP7VecsMemIjLi8192EEPN8subgUtil4SubgILi256EEE.uses_vcc)
	.set _Z15factorFromTruthPKiS0_PyPiS2_S2_PKjS4_S0_S4_i.uses_flat_scratch, or(1, .L__assert_fail.uses_flat_scratch, .L_ZN3sop13minatoIsopRecEPKjS1_iPNS_3SopEP7VecsMemIjLi8192EE.uses_flat_scratch, .L_ZN3sop12sopFactorRecEPNS_3SopEiP7VecsMemIjLi8192EEPN8subgUtil4SubgILi256EEE.uses_flat_scratch)
	.set _Z15factorFromTruthPKiS0_PyPiS2_S2_PKjS4_S0_S4_i.has_dyn_sized_stack, or(0, .L__assert_fail.has_dyn_sized_stack, .L_ZN3sop13minatoIsopRecEPKjS1_iPNS_3SopEP7VecsMemIjLi8192EE.has_dyn_sized_stack, .L_ZN3sop12sopFactorRecEPNS_3SopEiP7VecsMemIjLi8192EEPN8subgUtil4SubgILi256EEE.has_dyn_sized_stack)
	.set _Z15factorFromTruthPKiS0_PyPiS2_S2_PKjS4_S0_S4_i.has_recursion, or(1, .L__assert_fail.has_recursion, .L_ZN3sop13minatoIsopRecEPKjS1_iPNS_3SopEP7VecsMemIjLi8192EE.has_recursion, .L_ZN3sop12sopFactorRecEPNS_3SopEiP7VecsMemIjLi8192EEPN8subgUtil4SubgILi256EEE.has_recursion)
	.set _Z15factorFromTruthPKiS0_PyPiS2_S2_PKjS4_S0_S4_i.has_indirect_call, or(0, .L__assert_fail.has_indirect_call, .L_ZN3sop13minatoIsopRecEPKjS1_iPNS_3SopEP7VecsMemIjLi8192EE.has_indirect_call, .L_ZN3sop12sopFactorRecEPNS_3SopEiP7VecsMemIjLi8192EEPN8subgUtil4SubgILi256EEE.has_indirect_call)
	.section	.AMDGPU.csdata,"",@progbits
; Kernel info:
; codeLenInByte = 17828
; TotalNumSgprs: 108
; NumVgprs: 64
; ScratchSize: 35232
; MemoryBound: 0
; FloatMode: 240
; IeeeMode: 1
; LDSByteSize: 0 bytes/workgroup (compile time only)
; SGPRBlocks: 13
; VGPRBlocks: 15
; NumSGPRsForWavesPerEU: 108
; NumVGPRsForWavesPerEU: 64
; Occupancy: 4
; WaveLimiterHint : 1
; COMPUTE_PGM_RSRC2:SCRATCH_EN: 1
; COMPUTE_PGM_RSRC2:USER_SGPR: 8
; COMPUTE_PGM_RSRC2:TRAP_HANDLER: 0
; COMPUTE_PGM_RSRC2:TGID_X_EN: 1
; COMPUTE_PGM_RSRC2:TGID_Y_EN: 0
; COMPUTE_PGM_RSRC2:TGID_Z_EN: 0
; COMPUTE_PGM_RSRC2:TIDIG_COMP_CNT: 0
	.section	.AMDGPU.gpr_maximums,"",@progbits
	.set amdgpu.max_num_vgpr, 64
	.set amdgpu.max_num_agpr, 0
	.set amdgpu.max_num_sgpr, 100
	.section	.AMDGPU.csdata,"",@progbits
	.type	__const.__assert_fail.fmt,@object ; @__const.__assert_fail.fmt
	.section	.rodata.str1.16,"aMS",@progbits,1
	.p2align	4, 0x0
__const.__assert_fail.fmt:
	.asciz	"%s:%u: %s: Device-side assertion `%s' failed.\n"
	.size	__const.__assert_fail.fmt, 47

	.type	.str,@object                    ; @.str
	.section	.rodata.str1.1,"aMS",@progbits,1
.str:
	.asciz	"lit0 < lit1"
	.size	.str, 12

	.type	.str.1,@object                  ; @.str.1
.str.1:
	.asciz	"/root/src/amdgpu-assembly/repos/zjin-lcf__HeCBench/src/logic-rewrite-hip/refactor_core.cu"
	.size	.str.1, 90

	.type	__PRETTY_FUNCTION__._Z12evaluateSubgiPiPKiiiiS1_PKyPKjiPKN8subgUtil4SubgILi256EEE,@object ; @__PRETTY_FUNCTION__._Z12evaluateSubgiPiPKiiiiS1_PKyPKjiPKN8subgUtil4SubgILi256EEE
__PRETTY_FUNCTION__._Z12evaluateSubgiPiPKiiiiS1_PKyPKjiPKN8subgUtil4SubgILi256EEE:
	.asciz	"int evaluateSubg(int, int *, const int *, int, int, int, const int *, const uint64 *, const uint32 *, int, const subgUtil::Subg<SUBG_CAP> *)"
	.size	__PRETTY_FUNCTION__._Z12evaluateSubgiPiPKiiiiS1_PKyPKjiPKN8subgUtil4SubgILi256EEE, 141

	.type	.str.2,@object                  ; @.str.2
.str.2:
	.asciz	"id0 < i && id1 < i"
	.size	.str.2, 19

	.type	.str.7,@object                  ; @.str.7
.str.7:
	.asciz	"endIdx - startIdx == nWords"
	.size	.str.7, 28

	.type	__PRETTY_FUNCTION__._Z8resynCutPKiS0_S0_S0_PKyPKjiS0_PyPiS6_S6_PjS0_S4_ii,@object ; @__PRETTY_FUNCTION__._Z8resynCutPKiS0_S0_S0_PKyPKjiS0_PyPiS6_S6_PjS0_S4_ii
__PRETTY_FUNCTION__._Z8resynCutPKiS0_S0_S0_PKyPKjiS0_PyPiS6_S6_PjS0_S4_ii:
	.asciz	"void resynCut(const int *, const int *, const int *, const int *, const uint64 *, const uint32 *, int, const int *, uint64 *, int *, int *, int *, unsigned int *, const int *, const unsigned int *, int, int)"
	.size	__PRETTY_FUNCTION__._Z8resynCutPKiS0_S0_S0_PKyPKjiS0_PyPiS6_S6_PjS0_S4_ii, 208

	.type	.str.8,@object                  ; @.str.8
.str.8:
	.asciz	"vSubgLens[idx] > 0"
	.size	.str.8, 19

	.type	.str.9,@object                  ; @.str.9
.str.9:
	.asciz	"vSubgLinks[idx] == -1"
	.size	.str.9, 22

	.type	.str.10,@object                 ; @.str.10
.str.10:
	.asciz	"currRowIdx < 2 * nResyn - 1"
	.size	.str.10, 28

	.type	.str.11,@object                 ; @.str.11
.str.11:
	.asciz	"vSubgLinks[currRowIdx] == -1"
	.size	.str.11, 29

	.type	.str.12,@object                 ; @.str.12
.str.12:
	.asciz	"truthEndIdx - truthStartIdx == dUtils::TruthWordNum(nVars)"
	.size	.str.12, 59

	.type	__PRETTY_FUNCTION__._Z15factorFromTruthPKiS0_PyPiS2_S2_PKjS4_S0_S4_i,@object ; @__PRETTY_FUNCTION__._Z15factorFromTruthPKiS0_PyPiS2_S2_PKjS4_S0_S4_i
__PRETTY_FUNCTION__._Z15factorFromTruthPKiS0_PyPiS2_S2_PKjS4_S0_S4_i:
	.asciz	"void factorFromTruth(const int *, const int *, uint64 *, int *, int *, int *, const unsigned int *, const unsigned int *, const int *, const unsigned int *, int)"
	.size	__PRETTY_FUNCTION__._Z15factorFromTruthPKiS0_PyPiS2_S2_PKjS4_S0_S4_i, 162

	.type	.str.13,@object                 ; @.str.13
.str.13:
	.asciz	"vSubgLens[currRowIdx] > 0"
	.size	.str.13, 26

	.type	.str.14,@object                 ; @.str.14
.str.14:
	.asciz	"currRowIdx < 4 * nResyn - 1"
	.size	.str.14, 28

	.type	.str.15,@object                 ; @.str.15
.str.15:
	.asciz	"truthUtil::truthEqual(puTruth, pResult, nVars)"
	.size	.str.15, 47

	.type	.str.16,@object                 ; @.str.16
.str.16:
	.asciz	"/root/src/amdgpu-assembly/repos/zjin-lcf__HeCBench/src/logic-rewrite-hip/minato_isop.cuh"
	.size	.str.16, 89

	.type	__PRETTY_FUNCTION__._ZN3sop10minatoIsopEPKjiP7VecsMemIjLi8192EE,@object ; @__PRETTY_FUNCTION__._ZN3sop10minatoIsopEPKjiP7VecsMemIjLi8192EE
__PRETTY_FUNCTION__._ZN3sop10minatoIsopEPKjiP7VecsMemIjLi8192EE:
	.asciz	"void sop::minatoIsop(const unsigned int *, int, VecsMem<unsigned int, ISOP_FACTOR_MEM_CAP> *)"
	.size	__PRETTY_FUNCTION__._ZN3sop10minatoIsopEPKjiP7VecsMemIjLi8192EE, 94

	.type	.str.17,@object                 ; @.str.17
.str.17:
	.asciz	"pTemp != NULL"
	.size	.str.17, 14

	.type	.str.18,@object                 ; @.str.18
.str.18:
	.asciz	"nSize >= nSizeNew"
	.size	.str.18, 18

	.type	.str.19,@object                 ; @.str.19
.str.19:
	.asciz	"/root/src/amdgpu-assembly/repos/zjin-lcf__HeCBench/src/logic-rewrite-hip/vectors.cuh"
	.size	.str.19, 85

	.type	__PRETTY_FUNCTION__._ZN7VecsMemIjLi8192EE6shrinkEi,@object ; @__PRETTY_FUNCTION__._ZN7VecsMemIjLi8192EE6shrinkEi
__PRETTY_FUNCTION__._ZN7VecsMemIjLi8192EE6shrinkEi:
	.asciz	"void VecsMem<unsigned int, 8192>::shrink(int) [T = unsigned int, nCap = 8192]"
	.size	__PRETTY_FUNCTION__._ZN7VecsMemIjLi8192EE6shrinkEi, 78

	.type	__PRETTY_FUNCTION__._ZN3sop13minatoIsopRecEPKjS1_iPNS_3SopEP7VecsMemIjLi8192EE,@object ; @__PRETTY_FUNCTION__._ZN3sop13minatoIsopRecEPKjS1_iPNS_3SopEP7VecsMemIjLi8192EE
__PRETTY_FUNCTION__._ZN3sop13minatoIsopRecEPKjS1_iPNS_3SopEP7VecsMemIjLi8192EE:
	.asciz	"unsigned int *sop::minatoIsopRec(const unsigned int *, const unsigned int *, int, Sop *, VecsMem<unsigned int, ISOP_FACTOR_MEM_CAP> *)"
	.size	__PRETTY_FUNCTION__._ZN3sop13minatoIsopRecEPKjS1_iPNS_3SopEP7VecsMemIjLi8192EE, 135

	.type	.str.20,@object                 ; @.str.20
.str.20:
	.asciz	"pcRes->pCubes != NULL"
	.size	.str.20, 22

	.type	.str.21,@object                 ; @.str.21
.str.21:
	.asciz	"Var >= 0"
	.size	.str.21, 9

	.type	.str.23,@object                 ; @.str.23
.str.23:
	.asciz	"k == pcRes->nCubes"
	.size	.str.23, 19

	.type	__const._ZN3sop14minatoIsop5RecEjjiPNS_3SopEP7VecsMemIjLi8192EE.uMasks,@object ; @__const._ZN3sop14minatoIsop5RecEjjiPNS_3SopEP7VecsMemIjLi8192EE.uMasks
	.section	.rodata,"a",@progbits
	.p2align	4, 0x0
__const._ZN3sop14minatoIsop5RecEjjiPNS_3SopEP7VecsMemIjLi8192EE.uMasks:
	.long	2863311530                      ; 0xaaaaaaaa
	.long	3435973836                      ; 0xcccccccc
	;; [unrolled: 1-line block ×5, first 2 shown]
	.size	__const._ZN3sop14minatoIsop5RecEjjiPNS_3SopEP7VecsMemIjLi8192EE.uMasks, 20

	.type	__PRETTY_FUNCTION__._ZN3sop14minatoIsop5RecEjjiPNS_3SopEP7VecsMemIjLi8192EE,@object ; @__PRETTY_FUNCTION__._ZN3sop14minatoIsop5RecEjjiPNS_3SopEP7VecsMemIjLi8192EE
	.section	.rodata.str1.1,"aMS",@progbits,1
__PRETTY_FUNCTION__._ZN3sop14minatoIsop5RecEjjiPNS_3SopEP7VecsMemIjLi8192EE:
	.asciz	"unsigned int sop::minatoIsop5Rec(unsigned int, unsigned int, int, Sop *, VecsMem<unsigned int, ISOP_FACTOR_MEM_CAP> *)"
	.size	__PRETTY_FUNCTION__._ZN3sop14minatoIsop5RecEjjiPNS_3SopEP7VecsMemIjLi8192EE, 119

	.type	.str.27,@object                 ; @.str.27
.str.27:
	.asciz	"(uOn & ~uOnDc) == 0"
	.size	.str.27, 20

	.type	.str.28,@object                 ; @.str.28
.str.28:
	.asciz	"try to decrease K in refactor !!!\n"
	.size	.str.28, 35

	.type	.str.29,@object                 ; @.str.29
.str.29:
	.asciz	"0"
	.size	.str.29, 2

	.type	__PRETTY_FUNCTION__._ZN7VecsMemIjLi8192EE5fetchEi,@object ; @__PRETTY_FUNCTION__._ZN7VecsMemIjLi8192EE5fetchEi
__PRETTY_FUNCTION__._ZN7VecsMemIjLi8192EE5fetchEi:
	.asciz	"T *VecsMem<unsigned int, 8192>::fetch(int) [T = unsigned int, nCap = 8192]"
	.size	__PRETTY_FUNCTION__._ZN7VecsMemIjLi8192EE5fetchEi, 75

	.type	.str.30,@object                 ; @.str.30
.str.30:
	.asciz	"nVars < 16"
	.size	.str.30, 11

	.type	.str.31,@object                 ; @.str.31
.str.31:
	.asciz	"/root/src/amdgpu-assembly/repos/zjin-lcf__HeCBench/src/logic-rewrite-hip/alg_factor.cuh"
	.size	.str.31, 88

	.type	__PRETTY_FUNCTION__._ZN3sop9sopFactorEPjiiPKiiP7VecsMemIjLi8192EEPN8subgUtil4SubgILi256EEE,@object ; @__PRETTY_FUNCTION__._ZN3sop9sopFactorEPjiiPKiiP7VecsMemIjLi8192EEPN8subgUtil4SubgILi256EEE
__PRETTY_FUNCTION__._ZN3sop9sopFactorEPjiiPKiiP7VecsMemIjLi8192EEPN8subgUtil4SubgILi256EEE:
	.asciz	"void sop::sopFactor(unsigned int *, int, int, const int *, int, VecsMem<unsigned int, ISOP_FACTOR_MEM_CAP> *, subgUtil::Subg<SUBG_CAP> *)"
	.size	__PRETTY_FUNCTION__._ZN3sop9sopFactorEPjiiPKiiP7VecsMemIjLi8192EEPN8subgUtil4SubgILi256EEE, 138

	.type	.str.32,@object                 ; @.str.32
.str.32:
	.asciz	"subg->nSize == nVars"
	.size	.str.32, 21

	.type	.str.33,@object                 ; @.str.33
.str.33:
	.asciz	"cSop->nCubes > 0"
	.size	.str.33, 17

	.type	__PRETTY_FUNCTION__._ZN3sop12sopFactorRecEPNS_3SopEiP7VecsMemIjLi8192EEPN8subgUtil4SubgILi256EEE,@object ; @__PRETTY_FUNCTION__._ZN3sop12sopFactorRecEPNS_3SopEiP7VecsMemIjLi8192EEPN8subgUtil4SubgILi256EEE
__PRETTY_FUNCTION__._ZN3sop12sopFactorRecEPNS_3SopEiP7VecsMemIjLi8192EEPN8subgUtil4SubgILi256EEE:
	.asciz	"int sop::sopFactorRec(Sop *, int, VecsMem<unsigned int, ISOP_FACTOR_MEM_CAP> *, subgUtil::Subg<SUBG_CAP> *)"
	.size	__PRETTY_FUNCTION__._ZN3sop12sopFactorRecEPNS_3SopEiP7VecsMemIjLi8192EEPN8subgUtil4SubgILi256EEE, 108

	.type	.str.34,@object                 ; @.str.34
.str.34:
	.asciz	"cQuo->nCubes > 0"
	.size	.str.34, 17

	.type	.str.35,@object                 ; @.str.35
.str.35:
	.asciz	"cResult->nCubes > 0"
	.size	.str.35, 20

	.type	__PRETTY_FUNCTION__._ZN3sop10sopDivisorEPNS_3SopES1_iP7VecsMemIjLi8192EE,@object ; @__PRETTY_FUNCTION__._ZN3sop10sopDivisorEPNS_3SopES1_iP7VecsMemIjLi8192EE
__PRETTY_FUNCTION__._ZN3sop10sopDivisorEPNS_3SopES1_iP7VecsMemIjLi8192EE:
	.asciz	"int sop::sopDivisor(Sop *, Sop *, int, VecsMem<unsigned int, ISOP_FACTOR_MEM_CAP> *)"
	.size	__PRETTY_FUNCTION__._ZN3sop10sopDivisorEPNS_3SopES1_iP7VecsMemIjLi8192EE, 85

	.type	.str.36,@object                 ; @.str.36
.str.36:
	.asciz	"uCube"
	.size	.str.36, 6

	.type	__PRETTY_FUNCTION__._ZN3sop23sopFactorTrivialCubeRecEjiiPN8subgUtil4SubgILi256EEE,@object ; @__PRETTY_FUNCTION__._ZN3sop23sopFactorTrivialCubeRecEjiiPN8subgUtil4SubgILi256EEE
__PRETTY_FUNCTION__._ZN3sop23sopFactorTrivialCubeRecEjiiPN8subgUtil4SubgILi256EEE:
	.asciz	"int sop::sopFactorTrivialCubeRec(unsigned int, int, int, subgUtil::Subg<SUBG_CAP> *)"
	.size	__PRETTY_FUNCTION__._ZN3sop23sopFactorTrivialCubeRecEjiiPN8subgUtil4SubgILi256EEE, 85

	.type	.str.37,@object                 ; @.str.37
.str.37:
	.asciz	"iLit != -1"
	.size	.str.37, 11

	.type	.str.38,@object                 ; @.str.38
.str.38:
	.asciz	"cSop->nCubes >= cDiv->nCubes"
	.size	.str.38, 29

	.type	__PRETTY_FUNCTION__._ZN3sop17sopDivideInternalEPNS_3SopES1_S1_S1_P7VecsMemIjLi8192EE,@object ; @__PRETTY_FUNCTION__._ZN3sop17sopDivideInternalEPNS_3SopES1_S1_S1_P7VecsMemIjLi8192EE
__PRETTY_FUNCTION__._ZN3sop17sopDivideInternalEPNS_3SopES1_S1_S1_P7VecsMemIjLi8192EE:
	.asciz	"void sop::sopDivideInternal(Sop *, Sop *, Sop *, Sop *, VecsMem<unsigned int, ISOP_FACTOR_MEM_CAP> *)"
	.size	__PRETTY_FUNCTION__._ZN3sop17sopDivideInternalEPNS_3SopES1_S1_S1_P7VecsMemIjLi8192EE, 102

	.type	.str.39,@object                 ; @.str.39
.str.39:
	.asciz	"i2 < cSop->nCubes"
	.size	.str.39, 18

	.type	.str.40,@object                 ; @.str.40
.str.40:
	.asciz	"nCubesRem == vRem->nCubes"
	.size	.str.40, 26

	.type	.str.43,@object                 ; @.str.43
.str.43:
	.asciz	"nSize < nCap"
	.size	.str.43, 13

	.type	.str.44,@object                 ; @.str.44
.str.44:
	.asciz	"/root/src/amdgpu-assembly/repos/zjin-lcf__HeCBench/src/logic-rewrite-hip/sop.cuh"
	.size	.str.44, 81

	.type	__PRETTY_FUNCTION__._ZN8subgUtil4SubgILi256EE10addNodeAndEii,@object ; @__PRETTY_FUNCTION__._ZN8subgUtil4SubgILi256EE10addNodeAndEii
__PRETTY_FUNCTION__._ZN8subgUtil4SubgILi256EE10addNodeAndEii:
	.asciz	"int subgUtil::Subg<256>::addNodeAnd(int, int) [nCap = 256]"
	.size	__PRETTY_FUNCTION__._ZN8subgUtil4SubgILi256EE10addNodeAndEii, 59

	.type	__PRETTY_FUNCTION__._ZN8subgUtil4SubgILi256EE9addNodeOrEii,@object ; @__PRETTY_FUNCTION__._ZN8subgUtil4SubgILi256EE9addNodeOrEii
__PRETTY_FUNCTION__._ZN8subgUtil4SubgILi256EE9addNodeOrEii:
	.asciz	"int subgUtil::Subg<256>::addNodeOr(int, int) [nCap = 256]"
	.size	__PRETTY_FUNCTION__._ZN8subgUtil4SubgILi256EE9addNodeOrEii, 58

	.type	.str.45,@object                 ; @.str.45
.str.45:
	.asciz	"%d %d\n"
	.size	.str.45, 7

	.type	__PRETTY_FUNCTION__._ZN3sop18sopCommonCubeCoverEPNS_3SopES1_P7VecsMemIjLi8192EE,@object ; @__PRETTY_FUNCTION__._ZN3sop18sopCommonCubeCoverEPNS_3SopES1_P7VecsMemIjLi8192EE
__PRETTY_FUNCTION__._ZN3sop18sopCommonCubeCoverEPNS_3SopES1_P7VecsMemIjLi8192EE:
	.asciz	"void sop::sopCommonCubeCover(Sop *, Sop *, VecsMem<unsigned int, ISOP_FACTOR_MEM_CAP> *)"
	.size	__PRETTY_FUNCTION__._ZN3sop18sopCommonCubeCoverEPNS_3SopES1_P7VecsMemIjLi8192EE, 89

	.type	.str.46,@object                 ; @.str.46
.str.46:
	.asciz	"lit1 >= 0 && lit2 >= 0 && (fComp == 0 || fComp == 1) && lit1 <= lit2"
	.size	.str.46, 69

	.type	__PRETTY_FUNCTION__._ZN8subgUtil18formAndNodeKeyFlagEiii,@object ; @__PRETTY_FUNCTION__._ZN8subgUtil18formAndNodeKeyFlagEiii
__PRETTY_FUNCTION__._ZN8subgUtil18formAndNodeKeyFlagEiii:
	.asciz	"uint64 subgUtil::formAndNodeKeyFlag(const int, const int, const int)"
	.size	__PRETTY_FUNCTION__._ZN8subgUtil18formAndNodeKeyFlagEiii, 69

	.type	__hip_cuid_e84c7947d92ac96b,@object ; @__hip_cuid_e84c7947d92ac96b
	.section	.bss,"aw",@nobits
	.globl	__hip_cuid_e84c7947d92ac96b
__hip_cuid_e84c7947d92ac96b:
	.byte	0                               ; 0x0
	.size	__hip_cuid_e84c7947d92ac96b, 1

	.ident	"AMD clang version 22.0.0git (https://github.com/RadeonOpenCompute/llvm-project roc-7.2.4 26084 f58b06dce1f9c15707c5f808fd002e18c2accf7e)"
	.section	".note.GNU-stack","",@progbits
	.addrsig
	.addrsig_sym __hip_cuid_e84c7947d92ac96b
	.amdgpu_metadata
---
amdhsa.kernels:
  - .args:
      - .address_space:  global
        .offset:         0
        .size:           8
        .value_kind:     global_buffer
      - .address_space:  global
        .offset:         8
        .size:           8
        .value_kind:     global_buffer
      - .address_space:  global
        .offset:         16
        .size:           8
        .value_kind:     global_buffer
      - .address_space:  global
        .offset:         24
        .size:           8
        .value_kind:     global_buffer
      - .address_space:  global
        .offset:         32
        .size:           8
        .value_kind:     global_buffer
      - .address_space:  global
        .offset:         40
        .size:           8
        .value_kind:     global_buffer
      - .offset:         48
        .size:           4
        .value_kind:     by_value
      - .address_space:  global
        .offset:         56
        .size:           8
        .value_kind:     global_buffer
      - .address_space:  global
        .offset:         64
        .size:           8
        .value_kind:     global_buffer
      - .address_space:  global
        .offset:         72
        .size:           8
        .value_kind:     global_buffer
      - .address_space:  global
        .offset:         80
        .size:           8
        .value_kind:     global_buffer
      - .address_space:  global
        .offset:         88
        .size:           8
        .value_kind:     global_buffer
      - .address_space:  global
        .offset:         96
        .size:           8
        .value_kind:     global_buffer
      - .address_space:  global
        .offset:         104
        .size:           8
        .value_kind:     global_buffer
      - .address_space:  global
        .offset:         112
        .size:           8
        .value_kind:     global_buffer
      - .offset:         120
        .size:           4
        .value_kind:     by_value
      - .offset:         124
        .size:           4
        .value_kind:     by_value
      - .offset:         128
        .size:           4
        .value_kind:     hidden_block_count_x
      - .offset:         132
        .size:           4
        .value_kind:     hidden_block_count_y
      - .offset:         136
        .size:           4
        .value_kind:     hidden_block_count_z
      - .offset:         140
        .size:           2
        .value_kind:     hidden_group_size_x
      - .offset:         142
        .size:           2
        .value_kind:     hidden_group_size_y
      - .offset:         144
        .size:           2
        .value_kind:     hidden_group_size_z
      - .offset:         146
        .size:           2
        .value_kind:     hidden_remainder_x
      - .offset:         148
        .size:           2
        .value_kind:     hidden_remainder_y
      - .offset:         150
        .size:           2
        .value_kind:     hidden_remainder_z
      - .offset:         168
        .size:           8
        .value_kind:     hidden_global_offset_x
      - .offset:         176
        .size:           8
        .value_kind:     hidden_global_offset_y
      - .offset:         184
        .size:           8
        .value_kind:     hidden_global_offset_z
      - .offset:         192
        .size:           2
        .value_kind:     hidden_grid_dims
      - .offset:         208
        .size:           8
        .value_kind:     hidden_hostcall_buffer
    .group_segment_fixed_size: 0
    .kernarg_segment_align: 8
    .kernarg_segment_size: 384
    .language:       OpenCL C
    .language_version:
      - 2
      - 0
    .max_flat_workgroup_size: 1024
    .name:           _Z8resynCutPKiS0_S0_S0_PKyPKjiS0_PyPiS6_S6_PjS0_S4_ii
    .private_segment_fixed_size: 41488
    .sgpr_count:     108
    .sgpr_spill_count: 256
    .symbol:         _Z8resynCutPKiS0_S0_S0_PKyPKjiS0_PyPiS6_S6_PjS0_S4_ii.kd
    .uniform_work_group_size: 1
    .uses_dynamic_stack: true
    .vgpr_count:     64
    .vgpr_spill_count: 27
    .wavefront_size: 64
  - .args:
      - .address_space:  global
        .offset:         0
        .size:           8
        .value_kind:     global_buffer
      - .address_space:  global
        .offset:         8
        .size:           8
        .value_kind:     global_buffer
      - .address_space:  global
        .offset:         16
        .size:           8
        .value_kind:     global_buffer
      - .address_space:  global
        .offset:         24
        .size:           8
        .value_kind:     global_buffer
      - .address_space:  global
        .offset:         32
        .size:           8
        .value_kind:     global_buffer
      - .address_space:  global
        .offset:         40
        .size:           8
        .value_kind:     global_buffer
      - .address_space:  global
        .offset:         48
        .size:           8
        .value_kind:     global_buffer
      - .address_space:  global
        .offset:         56
        .size:           8
        .value_kind:     global_buffer
      - .address_space:  global
        .offset:         64
        .size:           8
        .value_kind:     global_buffer
      - .address_space:  global
        .offset:         72
        .size:           8
        .value_kind:     global_buffer
      - .offset:         80
        .size:           4
        .value_kind:     by_value
      - .offset:         88
        .size:           4
        .value_kind:     hidden_block_count_x
      - .offset:         92
        .size:           4
        .value_kind:     hidden_block_count_y
      - .offset:         96
        .size:           4
        .value_kind:     hidden_block_count_z
      - .offset:         100
        .size:           2
        .value_kind:     hidden_group_size_x
      - .offset:         102
        .size:           2
        .value_kind:     hidden_group_size_y
      - .offset:         104
        .size:           2
        .value_kind:     hidden_group_size_z
      - .offset:         106
        .size:           2
        .value_kind:     hidden_remainder_x
      - .offset:         108
        .size:           2
        .value_kind:     hidden_remainder_y
      - .offset:         110
        .size:           2
        .value_kind:     hidden_remainder_z
      - .offset:         128
        .size:           8
        .value_kind:     hidden_global_offset_x
      - .offset:         136
        .size:           8
        .value_kind:     hidden_global_offset_y
      - .offset:         144
        .size:           8
        .value_kind:     hidden_global_offset_z
      - .offset:         152
        .size:           2
        .value_kind:     hidden_grid_dims
      - .offset:         168
        .size:           8
        .value_kind:     hidden_hostcall_buffer
    .group_segment_fixed_size: 0
    .kernarg_segment_align: 8
    .kernarg_segment_size: 344
    .language:       OpenCL C
    .language_version:
      - 2
      - 0
    .max_flat_workgroup_size: 1024
    .name:           _Z15factorFromTruthPKiS0_PyPiS2_S2_PKjS4_S0_S4_i
    .private_segment_fixed_size: 35232
    .sgpr_count:     108
    .sgpr_spill_count: 59
    .symbol:         _Z15factorFromTruthPKiS0_PyPiS2_S2_PKjS4_S0_S4_i.kd
    .uniform_work_group_size: 1
    .uses_dynamic_stack: true
    .vgpr_count:     64
    .vgpr_spill_count: 26
    .wavefront_size: 64
amdhsa.target:   amdgcn-amd-amdhsa--gfx906
amdhsa.version:
  - 1
  - 2
...

	.end_amdgpu_metadata
